;; amdgpu-corpus repo=ROCm/rocFFT kind=compiled arch=gfx1201 opt=O3
	.text
	.amdgcn_target "amdgcn-amd-amdhsa--gfx1201"
	.amdhsa_code_object_version 6
	.protected	fft_rtc_fwd_len1400_factors_2_2_2_5_7_5_wgs_56_tpt_56_halfLds_sp_op_CI_CI_sbrr_dirReg ; -- Begin function fft_rtc_fwd_len1400_factors_2_2_2_5_7_5_wgs_56_tpt_56_halfLds_sp_op_CI_CI_sbrr_dirReg
	.globl	fft_rtc_fwd_len1400_factors_2_2_2_5_7_5_wgs_56_tpt_56_halfLds_sp_op_CI_CI_sbrr_dirReg
	.p2align	8
	.type	fft_rtc_fwd_len1400_factors_2_2_2_5_7_5_wgs_56_tpt_56_halfLds_sp_op_CI_CI_sbrr_dirReg,@function
fft_rtc_fwd_len1400_factors_2_2_2_5_7_5_wgs_56_tpt_56_halfLds_sp_op_CI_CI_sbrr_dirReg: ; @fft_rtc_fwd_len1400_factors_2_2_2_5_7_5_wgs_56_tpt_56_halfLds_sp_op_CI_CI_sbrr_dirReg
; %bb.0:
	s_clause 0x2
	s_load_b128 s[12:15], s[0:1], 0x18
	s_load_b128 s[8:11], s[0:1], 0x0
	;; [unrolled: 1-line block ×3, first 2 shown]
	v_mul_u32_u24_e32 v1, 0x493, v0
	v_mov_b32_e32 v5, 0
	v_mov_b32_e32 v29, 0
	;; [unrolled: 1-line block ×3, first 2 shown]
	s_wait_kmcnt 0x0
	s_load_b64 s[18:19], s[12:13], 0x0
	s_load_b64 s[16:17], s[14:15], 0x0
	v_lshrrev_b32_e32 v1, 16, v1
	v_cmp_lt_u64_e64 s2, s[10:11], 2
	s_delay_alu instid0(VALU_DEP_2) | instskip(NEXT) | instid1(VALU_DEP_2)
	v_dual_mov_b32 v8, v5 :: v_dual_add_nc_u32 v7, ttmp9, v1
	s_and_b32 vcc_lo, exec_lo, s2
	s_cbranch_vccnz .LBB0_8
; %bb.1:
	s_load_b64 s[2:3], s[0:1], 0x10
	v_mov_b32_e32 v29, 0
	v_mov_b32_e32 v30, 0
	s_delay_alu instid0(VALU_DEP_2)
	v_mov_b32_e32 v1, v29
	s_add_nc_u64 s[20:21], s[14:15], 8
	s_add_nc_u64 s[22:23], s[12:13], 8
	s_mov_b64 s[24:25], 1
	v_mov_b32_e32 v2, v30
	s_wait_kmcnt 0x0
	s_add_nc_u64 s[26:27], s[2:3], 8
	s_mov_b32 s3, 0
.LBB0_2:                                ; =>This Inner Loop Header: Depth=1
	s_load_b64 s[28:29], s[26:27], 0x0
                                        ; implicit-def: $vgpr3_vgpr4
	s_mov_b32 s2, exec_lo
	s_wait_kmcnt 0x0
	v_or_b32_e32 v6, s29, v8
	s_delay_alu instid0(VALU_DEP_1)
	v_cmpx_ne_u64_e32 0, v[5:6]
	s_wait_alu 0xfffe
	s_xor_b32 s30, exec_lo, s2
	s_cbranch_execz .LBB0_4
; %bb.3:                                ;   in Loop: Header=BB0_2 Depth=1
	s_cvt_f32_u32 s2, s28
	s_cvt_f32_u32 s31, s29
	s_sub_nc_u64 s[36:37], 0, s[28:29]
	s_wait_alu 0xfffe
	s_delay_alu instid0(SALU_CYCLE_1) | instskip(SKIP_1) | instid1(SALU_CYCLE_2)
	s_fmamk_f32 s2, s31, 0x4f800000, s2
	s_wait_alu 0xfffe
	v_s_rcp_f32 s2, s2
	s_delay_alu instid0(TRANS32_DEP_1) | instskip(SKIP_1) | instid1(SALU_CYCLE_2)
	s_mul_f32 s2, s2, 0x5f7ffffc
	s_wait_alu 0xfffe
	s_mul_f32 s31, s2, 0x2f800000
	s_wait_alu 0xfffe
	s_delay_alu instid0(SALU_CYCLE_2) | instskip(SKIP_1) | instid1(SALU_CYCLE_2)
	s_trunc_f32 s31, s31
	s_wait_alu 0xfffe
	s_fmamk_f32 s2, s31, 0xcf800000, s2
	s_cvt_u32_f32 s35, s31
	s_wait_alu 0xfffe
	s_delay_alu instid0(SALU_CYCLE_1) | instskip(SKIP_1) | instid1(SALU_CYCLE_2)
	s_cvt_u32_f32 s34, s2
	s_wait_alu 0xfffe
	s_mul_u64 s[38:39], s[36:37], s[34:35]
	s_wait_alu 0xfffe
	s_mul_hi_u32 s41, s34, s39
	s_mul_i32 s40, s34, s39
	s_mul_hi_u32 s2, s34, s38
	s_mul_i32 s33, s35, s38
	s_wait_alu 0xfffe
	s_add_nc_u64 s[40:41], s[2:3], s[40:41]
	s_mul_hi_u32 s31, s35, s38
	s_mul_hi_u32 s42, s35, s39
	s_add_co_u32 s2, s40, s33
	s_wait_alu 0xfffe
	s_add_co_ci_u32 s2, s41, s31
	s_mul_i32 s38, s35, s39
	s_add_co_ci_u32 s39, s42, 0
	s_wait_alu 0xfffe
	s_add_nc_u64 s[38:39], s[2:3], s[38:39]
	s_wait_alu 0xfffe
	v_add_co_u32 v3, s2, s34, s38
	s_delay_alu instid0(VALU_DEP_1) | instskip(SKIP_1) | instid1(VALU_DEP_1)
	s_cmp_lg_u32 s2, 0
	s_add_co_ci_u32 s35, s35, s39
	v_readfirstlane_b32 s34, v3
	s_wait_alu 0xfffe
	s_delay_alu instid0(VALU_DEP_1)
	s_mul_u64 s[36:37], s[36:37], s[34:35]
	s_wait_alu 0xfffe
	s_mul_hi_u32 s39, s34, s37
	s_mul_i32 s38, s34, s37
	s_mul_hi_u32 s2, s34, s36
	s_mul_i32 s33, s35, s36
	s_wait_alu 0xfffe
	s_add_nc_u64 s[38:39], s[2:3], s[38:39]
	s_mul_hi_u32 s31, s35, s36
	s_mul_hi_u32 s34, s35, s37
	s_wait_alu 0xfffe
	s_add_co_u32 s2, s38, s33
	s_add_co_ci_u32 s2, s39, s31
	s_mul_i32 s36, s35, s37
	s_add_co_ci_u32 s37, s34, 0
	s_wait_alu 0xfffe
	s_add_nc_u64 s[36:37], s[2:3], s[36:37]
	s_wait_alu 0xfffe
	v_add_co_u32 v6, s2, v3, s36
	s_delay_alu instid0(VALU_DEP_1) | instskip(SKIP_1) | instid1(VALU_DEP_1)
	s_cmp_lg_u32 s2, 0
	s_add_co_ci_u32 s2, s35, s37
	v_mul_hi_u32 v13, v7, v6
	s_wait_alu 0xfffe
	v_mad_co_u64_u32 v[3:4], null, v7, s2, 0
	v_mad_co_u64_u32 v[9:10], null, v8, v6, 0
	;; [unrolled: 1-line block ×3, first 2 shown]
	s_delay_alu instid0(VALU_DEP_3) | instskip(SKIP_1) | instid1(VALU_DEP_4)
	v_add_co_u32 v3, vcc_lo, v13, v3
	s_wait_alu 0xfffd
	v_add_co_ci_u32_e32 v4, vcc_lo, 0, v4, vcc_lo
	s_delay_alu instid0(VALU_DEP_2) | instskip(SKIP_1) | instid1(VALU_DEP_2)
	v_add_co_u32 v3, vcc_lo, v3, v9
	s_wait_alu 0xfffd
	v_add_co_ci_u32_e32 v3, vcc_lo, v4, v10, vcc_lo
	s_wait_alu 0xfffd
	v_add_co_ci_u32_e32 v4, vcc_lo, 0, v12, vcc_lo
	s_delay_alu instid0(VALU_DEP_2) | instskip(SKIP_1) | instid1(VALU_DEP_2)
	v_add_co_u32 v6, vcc_lo, v3, v11
	s_wait_alu 0xfffd
	v_add_co_ci_u32_e32 v9, vcc_lo, 0, v4, vcc_lo
	s_delay_alu instid0(VALU_DEP_2) | instskip(SKIP_1) | instid1(VALU_DEP_3)
	v_mul_lo_u32 v10, s29, v6
	v_mad_co_u64_u32 v[3:4], null, s28, v6, 0
	v_mul_lo_u32 v11, s28, v9
	s_delay_alu instid0(VALU_DEP_2) | instskip(NEXT) | instid1(VALU_DEP_2)
	v_sub_co_u32 v3, vcc_lo, v7, v3
	v_add3_u32 v4, v4, v11, v10
	s_delay_alu instid0(VALU_DEP_1) | instskip(SKIP_1) | instid1(VALU_DEP_1)
	v_sub_nc_u32_e32 v10, v8, v4
	s_wait_alu 0xfffd
	v_subrev_co_ci_u32_e64 v10, s2, s29, v10, vcc_lo
	v_add_co_u32 v11, s2, v6, 2
	s_wait_alu 0xf1ff
	v_add_co_ci_u32_e64 v12, s2, 0, v9, s2
	v_sub_co_u32 v13, s2, v3, s28
	v_sub_co_ci_u32_e32 v4, vcc_lo, v8, v4, vcc_lo
	s_wait_alu 0xf1ff
	v_subrev_co_ci_u32_e64 v10, s2, 0, v10, s2
	s_delay_alu instid0(VALU_DEP_3) | instskip(NEXT) | instid1(VALU_DEP_3)
	v_cmp_le_u32_e32 vcc_lo, s28, v13
	v_cmp_eq_u32_e64 s2, s29, v4
	s_wait_alu 0xfffd
	v_cndmask_b32_e64 v13, 0, -1, vcc_lo
	v_cmp_le_u32_e32 vcc_lo, s29, v10
	s_wait_alu 0xfffd
	v_cndmask_b32_e64 v14, 0, -1, vcc_lo
	v_cmp_le_u32_e32 vcc_lo, s28, v3
	;; [unrolled: 3-line block ×3, first 2 shown]
	s_wait_alu 0xfffd
	v_cndmask_b32_e64 v15, 0, -1, vcc_lo
	v_cmp_eq_u32_e32 vcc_lo, s29, v10
	s_wait_alu 0xf1ff
	s_delay_alu instid0(VALU_DEP_2)
	v_cndmask_b32_e64 v3, v15, v3, s2
	s_wait_alu 0xfffd
	v_cndmask_b32_e32 v10, v14, v13, vcc_lo
	v_add_co_u32 v13, vcc_lo, v6, 1
	s_wait_alu 0xfffd
	v_add_co_ci_u32_e32 v14, vcc_lo, 0, v9, vcc_lo
	s_delay_alu instid0(VALU_DEP_3) | instskip(SKIP_1) | instid1(VALU_DEP_2)
	v_cmp_ne_u32_e32 vcc_lo, 0, v10
	s_wait_alu 0xfffd
	v_cndmask_b32_e32 v4, v14, v12, vcc_lo
	v_cndmask_b32_e32 v10, v13, v11, vcc_lo
	v_cmp_ne_u32_e32 vcc_lo, 0, v3
	s_wait_alu 0xfffd
	s_delay_alu instid0(VALU_DEP_2)
	v_dual_cndmask_b32 v4, v9, v4 :: v_dual_cndmask_b32 v3, v6, v10
.LBB0_4:                                ;   in Loop: Header=BB0_2 Depth=1
	s_wait_alu 0xfffe
	s_and_not1_saveexec_b32 s2, s30
	s_cbranch_execz .LBB0_6
; %bb.5:                                ;   in Loop: Header=BB0_2 Depth=1
	v_cvt_f32_u32_e32 v3, s28
	s_sub_co_i32 s30, 0, s28
	s_delay_alu instid0(VALU_DEP_1) | instskip(NEXT) | instid1(TRANS32_DEP_1)
	v_rcp_iflag_f32_e32 v3, v3
	v_mul_f32_e32 v3, 0x4f7ffffe, v3
	s_delay_alu instid0(VALU_DEP_1) | instskip(SKIP_1) | instid1(VALU_DEP_1)
	v_cvt_u32_f32_e32 v3, v3
	s_wait_alu 0xfffe
	v_mul_lo_u32 v4, s30, v3
	s_delay_alu instid0(VALU_DEP_1) | instskip(NEXT) | instid1(VALU_DEP_1)
	v_mul_hi_u32 v4, v3, v4
	v_add_nc_u32_e32 v3, v3, v4
	s_delay_alu instid0(VALU_DEP_1) | instskip(NEXT) | instid1(VALU_DEP_1)
	v_mul_hi_u32 v3, v7, v3
	v_mul_lo_u32 v4, v3, s28
	v_add_nc_u32_e32 v6, 1, v3
	s_delay_alu instid0(VALU_DEP_2) | instskip(NEXT) | instid1(VALU_DEP_1)
	v_sub_nc_u32_e32 v4, v7, v4
	v_subrev_nc_u32_e32 v9, s28, v4
	v_cmp_le_u32_e32 vcc_lo, s28, v4
	s_wait_alu 0xfffd
	s_delay_alu instid0(VALU_DEP_2) | instskip(NEXT) | instid1(VALU_DEP_1)
	v_dual_cndmask_b32 v4, v4, v9 :: v_dual_cndmask_b32 v3, v3, v6
	v_cmp_le_u32_e32 vcc_lo, s28, v4
	v_mov_b32_e32 v4, v5
	s_delay_alu instid0(VALU_DEP_3) | instskip(SKIP_1) | instid1(VALU_DEP_1)
	v_add_nc_u32_e32 v6, 1, v3
	s_wait_alu 0xfffd
	v_cndmask_b32_e32 v3, v3, v6, vcc_lo
.LBB0_6:                                ;   in Loop: Header=BB0_2 Depth=1
	s_wait_alu 0xfffe
	s_or_b32 exec_lo, exec_lo, s2
	v_mul_lo_u32 v6, v4, s28
	s_delay_alu instid0(VALU_DEP_2)
	v_mul_lo_u32 v11, v3, s29
	s_load_b64 s[30:31], s[22:23], 0x0
	v_mad_co_u64_u32 v[9:10], null, v3, s28, 0
	s_load_b64 s[28:29], s[20:21], 0x0
	s_add_nc_u64 s[24:25], s[24:25], 1
	s_add_nc_u64 s[20:21], s[20:21], 8
	s_wait_alu 0xfffe
	v_cmp_ge_u64_e64 s2, s[24:25], s[10:11]
	s_add_nc_u64 s[22:23], s[22:23], 8
	s_add_nc_u64 s[26:27], s[26:27], 8
	v_add3_u32 v6, v10, v11, v6
	v_sub_co_u32 v7, vcc_lo, v7, v9
	s_wait_alu 0xfffd
	s_delay_alu instid0(VALU_DEP_2) | instskip(SKIP_2) | instid1(VALU_DEP_1)
	v_sub_co_ci_u32_e32 v6, vcc_lo, v8, v6, vcc_lo
	s_and_b32 vcc_lo, exec_lo, s2
	s_wait_kmcnt 0x0
	v_mul_lo_u32 v8, s30, v6
	v_mul_lo_u32 v9, s31, v7
	v_mad_co_u64_u32 v[29:30], null, s30, v7, v[29:30]
	v_mul_lo_u32 v6, s28, v6
	v_mul_lo_u32 v10, s29, v7
	v_mad_co_u64_u32 v[1:2], null, s28, v7, v[1:2]
	s_delay_alu instid0(VALU_DEP_4) | instskip(NEXT) | instid1(VALU_DEP_2)
	v_add3_u32 v30, v9, v30, v8
	v_add3_u32 v2, v10, v2, v6
	s_wait_alu 0xfffe
	s_cbranch_vccnz .LBB0_9
; %bb.7:                                ;   in Loop: Header=BB0_2 Depth=1
	v_dual_mov_b32 v8, v4 :: v_dual_mov_b32 v7, v3
	s_branch .LBB0_2
.LBB0_8:
	v_dual_mov_b32 v1, v29 :: v_dual_mov_b32 v2, v30
	s_delay_alu instid0(VALU_DEP_2)
	v_dual_mov_b32 v3, v7 :: v_dual_mov_b32 v4, v8
.LBB0_9:
	s_load_b64 s[0:1], s[0:1], 0x28
	v_mul_hi_u32 v5, 0x4924925, v0
	s_lshl_b64 s[10:11], s[10:11], 3
                                        ; implicit-def: $vgpr68
                                        ; implicit-def: $vgpr69
                                        ; implicit-def: $vgpr70
                                        ; implicit-def: $vgpr71
                                        ; implicit-def: $vgpr72
                                        ; implicit-def: $vgpr73
                                        ; implicit-def: $vgpr74
                                        ; implicit-def: $vgpr75
                                        ; implicit-def: $vgpr76
                                        ; implicit-def: $vgpr77
                                        ; implicit-def: $vgpr78
                                        ; implicit-def: $vgpr79
	s_wait_alu 0xfffe
	s_add_nc_u64 s[2:3], s[14:15], s[10:11]
                                        ; implicit-def: $sgpr14
	s_wait_kmcnt 0x0
	v_cmp_gt_u64_e32 vcc_lo, s[0:1], v[3:4]
	v_cmp_le_u64_e64 s0, s[0:1], v[3:4]
	s_delay_alu instid0(VALU_DEP_1)
	s_and_saveexec_b32 s1, s0
	s_wait_alu 0xfffe
	s_xor_b32 s0, exec_lo, s1
	s_cbranch_execz .LBB0_11
; %bb.10:
	v_mul_u32_u24_e32 v5, 56, v5
	s_mov_b32 s14, 0
                                        ; implicit-def: $vgpr29_vgpr30
	s_delay_alu instid0(VALU_DEP_1) | instskip(NEXT) | instid1(VALU_DEP_1)
	v_sub_nc_u32_e32 v68, v0, v5
                                        ; implicit-def: $vgpr5
                                        ; implicit-def: $vgpr0
	v_add_nc_u32_e32 v69, 56, v68
	v_add_nc_u32_e32 v70, 0x70, v68
	;; [unrolled: 1-line block ×7, first 2 shown]
	v_or_b32_e32 v76, 0x1c0, v68
	v_add_nc_u32_e32 v77, 0x1f8, v68
	v_add_nc_u32_e32 v78, 0x230, v68
	;; [unrolled: 1-line block ×3, first 2 shown]
.LBB0_11:
	s_wait_alu 0xfffe
	s_or_saveexec_b32 s1, s0
	s_load_b64 s[2:3], s[2:3], 0x0
	v_dual_mov_b32 v39, s14 :: v_dual_mov_b32 v38, s14
                                        ; implicit-def: $vgpr6
                                        ; implicit-def: $vgpr10
                                        ; implicit-def: $vgpr8
                                        ; implicit-def: $vgpr16
                                        ; implicit-def: $vgpr14
                                        ; implicit-def: $vgpr18
                                        ; implicit-def: $vgpr22
                                        ; implicit-def: $vgpr26
                                        ; implicit-def: $vgpr24
                                        ; implicit-def: $vgpr28
                                        ; implicit-def: $vgpr31
                                        ; implicit-def: $vgpr33
                                        ; implicit-def: $vgpr35
                                        ; implicit-def: $vgpr50
                                        ; implicit-def: $vgpr53
                                        ; implicit-def: $vgpr55
                                        ; implicit-def: $vgpr59
                                        ; implicit-def: $vgpr57
                                        ; implicit-def: $vgpr63
                                        ; implicit-def: $vgpr67
                                        ; implicit-def: $vgpr61
                                        ; implicit-def: $vgpr65
                                        ; implicit-def: $vgpr37
                                        ; implicit-def: $vgpr20
                                        ; implicit-def: $vgpr12
	s_xor_b32 exec_lo, exec_lo, s1
	s_cbranch_execz .LBB0_15
; %bb.12:
	v_mul_u32_u24_e32 v5, 56, v5
	s_add_nc_u64 s[10:11], s[12:13], s[10:11]
	v_lshlrev_b64_e32 v[7:8], 3, v[29:30]
	s_load_b64 s[10:11], s[10:11], 0x0
	s_delay_alu instid0(VALU_DEP_2) | instskip(NEXT) | instid1(VALU_DEP_1)
	v_sub_nc_u32_e32 v68, v0, v5
	v_mad_co_u64_u32 v[5:6], null, s18, v68, 0
	v_add_nc_u32_e32 v69, 56, v68
	v_add_nc_u32_e32 v21, 0x2f4, v68
	v_add_nc_u32_e32 v28, 0x39c, v68
	v_add_nc_u32_e32 v70, 0x70, v68
	v_add_nc_u32_e32 v72, 0xe0, v68
	v_add_nc_u32_e32 v36, 0x3d4, v68
	v_mov_b32_e32 v0, v6
	v_mad_co_u64_u32 v[11:12], null, s18, v69, 0
	v_mad_co_u64_u32 v[26:27], null, s18, v28, 0
	s_delay_alu instid0(VALU_DEP_3)
	v_mad_co_u64_u32 v[15:16], null, s19, v68, v[0:1]
	v_mad_co_u64_u32 v[16:17], null, s18, v21, 0
	v_add_nc_u32_e32 v18, 0x2bc, v68
	s_wait_kmcnt 0x0
	v_mul_lo_u32 v20, s11, v3
	v_mul_lo_u32 v22, s10, v4
	v_mad_co_u64_u32 v[13:14], null, s10, v3, 0
	v_mad_co_u64_u32 v[9:10], null, s18, v18, 0
	v_mov_b32_e32 v6, v12
	v_add_nc_u32_e32 v24, 0x364, v68
	v_mad_co_u64_u32 v[34:35], null, s18, v36, 0
	v_add3_u32 v14, v14, v22, v20
	v_add_nc_u32_e32 v74, 0x150, v68
	v_mov_b32_e32 v0, v10
	v_mad_co_u64_u32 v[22:23], null, s18, v24, 0
	s_delay_alu instid0(VALU_DEP_4) | instskip(SKIP_1) | instid1(VALU_DEP_4)
	v_lshlrev_b64_e32 v[13:14], 3, v[13:14]
	v_add_nc_u32_e32 v40, 0x40c, v68
	v_mad_co_u64_u32 v[18:19], null, s19, v18, v[0:1]
	v_mad_co_u64_u32 v[19:20], null, s19, v69, v[6:7]
	s_delay_alu instid0(VALU_DEP_4) | instskip(SKIP_3) | instid1(VALU_DEP_3)
	v_add_co_u32 v0, s0, s4, v13
	s_wait_alu 0xf1ff
	v_add_co_ci_u32_e64 v13, s0, s5, v14, s0
	v_add_nc_u32_e32 v20, 0x32c, v68
	v_add_co_u32 v0, s0, v0, v7
	v_mov_b32_e32 v12, v19
	s_wait_alu 0xf1ff
	v_add_co_ci_u32_e64 v29, s0, v13, v8, s0
	v_mad_co_u64_u32 v[13:14], null, s18, v70, 0
	v_dual_mov_b32 v6, v15 :: v_dual_mov_b32 v15, v17
	v_lshlrev_b64_e32 v[7:8], 3, v[11:12]
	v_dual_mov_b32 v10, v18 :: v_dual_add_nc_u32 v71, 0xa8, v68
	v_mad_co_u64_u32 v[18:19], null, s18, v20, 0
	s_delay_alu instid0(VALU_DEP_4) | instskip(NEXT) | instid1(VALU_DEP_3)
	v_mad_co_u64_u32 v[11:12], null, s19, v21, v[15:16]
	v_lshlrev_b64_e32 v[9:10], 3, v[9:10]
	v_add_nc_u32_e32 v73, 0x118, v68
	v_add_nc_u32_e32 v42, 0x444, v68
	v_or_b32_e32 v76, 0x1c0, v68
	v_mov_b32_e32 v12, v19
	v_dual_mov_b32 v17, v11 :: v_dual_add_nc_u32 v78, 0x230, v68
	v_mov_b32_e32 v11, v14
	v_lshlrev_b64_e32 v[5:6], 3, v[5:6]
	v_add_nc_u32_e32 v54, 0x4ec, v68
	s_mov_b32 s4, exec_lo
	v_lshlrev_b64_e32 v[14:15], 3, v[16:17]
	v_mad_co_u64_u32 v[16:17], null, s19, v70, v[11:12]
	s_delay_alu instid0(VALU_DEP_4)
	v_add_co_u32 v5, s0, v0, v5
	v_mad_co_u64_u32 v[11:12], null, s19, v20, v[12:13]
	s_wait_alu 0xf1ff
	v_add_co_ci_u32_e64 v6, s0, v29, v6, s0
	v_add_co_u32 v9, s0, v0, v9
	s_wait_alu 0xf1ff
	v_add_co_ci_u32_e64 v10, s0, v29, v10, s0
	v_add_co_u32 v7, s0, v0, v7
	s_wait_alu 0xf1ff
	v_add_co_ci_u32_e64 v8, s0, v29, v8, s0
	v_mov_b32_e32 v19, v11
	v_add_co_u32 v20, s0, v0, v14
	s_wait_alu 0xf1ff
	v_add_co_ci_u32_e64 v21, s0, v29, v15, s0
	v_mov_b32_e32 v14, v16
	v_mad_co_u64_u32 v[15:16], null, s18, v71, 0
	v_lshlrev_b64_e32 v[17:18], 3, v[18:19]
	s_clause 0x3
	global_load_b64 v[5:6], v[5:6], off
	global_load_b64 v[9:10], v[9:10], off
	;; [unrolled: 1-line block ×4, first 2 shown]
	v_mov_b32_e32 v19, v23
	v_add_nc_u32_e32 v75, 0x188, v68
	v_add_nc_u32_e32 v47, 0x47c, v68
	;; [unrolled: 1-line block ×3, first 2 shown]
	v_mad_co_u64_u32 v[20:21], null, s19, v71, v[16:17]
	s_delay_alu instid0(VALU_DEP_4) | instskip(NEXT) | instid1(VALU_DEP_3)
	v_mad_co_u64_u32 v[38:39], null, s18, v75, 0
	v_mad_co_u64_u32 v[45:46], null, s18, v77, 0
	v_add_nc_u32_e32 v49, 0x4b4, v68
	v_add_nc_u32_e32 v79, 0x268, v68
	v_mad_co_u64_u32 v[23:24], null, s19, v24, v[19:20]
	v_mad_co_u64_u32 v[24:25], null, s18, v72, 0
	v_dual_mov_b32 v16, v20 :: v_dual_add_nc_u32 v59, 0x524, v68
	s_delay_alu instid0(VALU_DEP_3) | instskip(NEXT) | instid1(VALU_DEP_2)
	v_lshlrev_b64_e32 v[20:21], 3, v[22:23]
	v_lshlrev_b64_e32 v[15:16], 3, v[15:16]
	s_delay_alu instid0(VALU_DEP_4) | instskip(NEXT) | instid1(VALU_DEP_1)
	v_mov_b32_e32 v19, v25
	v_mad_co_u64_u32 v[22:23], null, s19, v72, v[19:20]
	s_delay_alu instid0(VALU_DEP_1) | instskip(SKIP_1) | instid1(VALU_DEP_2)
	v_mov_b32_e32 v25, v22
	v_lshlrev_b64_e32 v[13:14], 3, v[13:14]
	v_lshlrev_b64_e32 v[23:24], 3, v[24:25]
	s_delay_alu instid0(VALU_DEP_2) | instskip(SKIP_1) | instid1(VALU_DEP_3)
	v_add_co_u32 v13, s0, v0, v13
	s_wait_alu 0xf1ff
	v_add_co_ci_u32_e64 v14, s0, v29, v14, s0
	v_add_co_u32 v17, s0, v0, v17
	s_wait_alu 0xf1ff
	v_add_co_ci_u32_e64 v18, s0, v29, v18, s0
	;; [unrolled: 3-line block ×4, first 2 shown]
	v_mad_co_u64_u32 v[21:22], null, s18, v73, 0
	v_mov_b32_e32 v15, v27
	s_delay_alu instid0(VALU_DEP_1)
	v_mad_co_u64_u32 v[27:28], null, s19, v28, v[15:16]
	s_clause 0x3
	global_load_b64 v[15:16], v[13:14], off
	global_load_b64 v[19:20], v[17:18], off
	;; [unrolled: 1-line block ×4, first 2 shown]
	v_mad_co_u64_u32 v[30:31], null, s19, v73, v[22:23]
	v_mov_b32_e32 v22, v35
	v_add_co_u32 v23, s0, v0, v23
	v_mad_co_u64_u32 v[31:32], null, s18, v74, 0
	v_lshlrev_b64_e32 v[25:26], 3, v[26:27]
	s_delay_alu instid0(VALU_DEP_3)
	v_mad_co_u64_u32 v[27:28], null, s19, v36, v[22:23]
	v_mov_b32_e32 v22, v30
	s_wait_alu 0xf1ff
	v_add_co_ci_u32_e64 v24, s0, v29, v24, s0
	v_mov_b32_e32 v28, v32
	v_add_co_u32 v25, s0, v0, v25
	v_lshlrev_b64_e32 v[21:22], 3, v[21:22]
	v_mov_b32_e32 v35, v27
	s_wait_alu 0xf1ff
	v_add_co_ci_u32_e64 v26, s0, v29, v26, s0
	v_mad_co_u64_u32 v[27:28], null, s19, v74, v[28:29]
	s_delay_alu instid0(VALU_DEP_4)
	v_add_co_u32 v36, s0, v0, v21
	s_wait_alu 0xf1ff
	v_add_co_ci_u32_e64 v37, s0, v29, v22, s0
	v_lshlrev_b64_e32 v[21:22], 3, v[34:35]
	v_mad_co_u64_u32 v[33:34], null, s18, v40, 0
	v_mov_b32_e32 v32, v27
	s_delay_alu instid0(VALU_DEP_3) | instskip(SKIP_1) | instid1(VALU_DEP_4)
	v_add_co_u32 v27, s0, v0, v21
	s_wait_alu 0xf1ff
	v_add_co_ci_u32_e64 v28, s0, v29, v22, s0
	s_delay_alu instid0(VALU_DEP_4) | instskip(SKIP_1) | instid1(VALU_DEP_2)
	v_dual_mov_b32 v21, v34 :: v_dual_mov_b32 v22, v39
	v_lshlrev_b64_e32 v[30:31], 3, v[31:32]
	v_mad_co_u64_u32 v[34:35], null, s19, v40, v[21:22]
	v_mad_co_u64_u32 v[39:40], null, s19, v75, v[22:23]
	;; [unrolled: 1-line block ×3, first 2 shown]
	s_clause 0x3
	global_load_b64 v[21:22], v[23:24], off
	global_load_b64 v[25:26], v[25:26], off
	;; [unrolled: 1-line block ×4, first 2 shown]
	v_add_co_u32 v30, s0, v0, v30
	v_lshlrev_b64_e32 v[33:34], 3, v[33:34]
	s_wait_alu 0xf1ff
	v_add_co_ci_u32_e64 v31, s0, v29, v31, s0
	v_mov_b32_e32 v32, v41
	s_delay_alu instid0(VALU_DEP_1)
	v_mad_co_u64_u32 v[35:36], null, s19, v42, v[32:33]
	v_lshlrev_b64_e32 v[36:37], 3, v[38:39]
	v_mad_co_u64_u32 v[38:39], null, s18, v76, 0
	v_add_co_u32 v32, s0, v0, v33
	s_wait_alu 0xf1ff
	v_add_co_ci_u32_e64 v33, s0, v29, v34, s0
	v_mov_b32_e32 v41, v35
	v_add_co_u32 v34, s0, v0, v36
	v_mov_b32_e32 v36, v39
	s_wait_alu 0xf1ff
	v_add_co_ci_u32_e64 v35, s0, v29, v37, s0
	v_lshlrev_b64_e32 v[39:40], 3, v[40:41]
	v_mad_co_u64_u32 v[41:42], null, s18, v47, 0
	v_mad_co_u64_u32 v[36:37], null, s19, v76, v[36:37]
	s_delay_alu instid0(VALU_DEP_3) | instskip(SKIP_1) | instid1(VALU_DEP_4)
	v_add_co_u32 v43, s0, v0, v39
	s_wait_alu 0xf1ff
	v_add_co_ci_u32_e64 v44, s0, v29, v40, s0
	s_delay_alu instid0(VALU_DEP_4) | instskip(NEXT) | instid1(VALU_DEP_4)
	v_dual_mov_b32 v37, v42 :: v_dual_mov_b32 v40, v46
	v_mov_b32_e32 v39, v36
	s_delay_alu instid0(VALU_DEP_2)
	v_mad_co_u64_u32 v[47:48], null, s19, v47, v[37:38]
	s_clause 0x3
	global_load_b64 v[30:31], v[30:31], off
	global_load_b64 v[36:37], v[32:33], off
	;; [unrolled: 1-line block ×4, first 2 shown]
	v_mad_co_u64_u32 v[43:44], null, s19, v77, v[40:41]
	v_lshlrev_b64_e32 v[38:39], 3, v[38:39]
	v_mov_b32_e32 v42, v47
	v_mad_co_u64_u32 v[47:48], null, s18, v49, 0
	s_delay_alu instid0(VALU_DEP_4) | instskip(SKIP_1) | instid1(VALU_DEP_4)
	v_mov_b32_e32 v46, v43
	v_mad_co_u64_u32 v[43:44], null, s18, v78, 0
	v_lshlrev_b64_e32 v[40:41], 3, v[41:42]
	v_add_co_u32 v38, s0, v0, v38
	v_mov_b32_e32 v42, v48
	s_wait_alu 0xf1ff
	v_add_co_ci_u32_e64 v39, s0, v29, v39, s0
	s_delay_alu instid0(VALU_DEP_4) | instskip(NEXT) | instid1(VALU_DEP_3)
	v_add_co_u32 v40, s0, v0, v40
	v_mad_co_u64_u32 v[48:49], null, s19, v49, v[42:43]
	v_mad_co_u64_u32 v[49:50], null, s18, v54, 0
	v_mov_b32_e32 v42, v44
	v_lshlrev_b64_e32 v[44:45], 3, v[45:46]
	s_wait_alu 0xf1ff
	v_add_co_ci_u32_e64 v41, s0, v29, v41, s0
	s_delay_alu instid0(VALU_DEP_3) | instskip(SKIP_3) | instid1(VALU_DEP_3)
	v_mad_co_u64_u32 v[51:52], null, s19, v78, v[42:43]
	v_mov_b32_e32 v42, v50
	v_mad_co_u64_u32 v[52:53], null, s18, v79, 0
	v_add_co_u32 v57, s0, v0, v44
	v_mad_co_u64_u32 v[54:55], null, s19, v54, v[42:43]
	v_mad_co_u64_u32 v[55:56], null, s18, v59, 0
	s_delay_alu instid0(VALU_DEP_4)
	v_mov_b32_e32 v42, v53
	v_mov_b32_e32 v44, v51
	s_wait_alu 0xf1ff
	v_add_co_ci_u32_e64 v58, s0, v29, v45, s0
	v_lshlrev_b64_e32 v[45:46], 3, v[47:48]
	v_mad_co_u64_u32 v[47:48], null, s19, v79, v[42:43]
	v_lshlrev_b64_e32 v[43:44], 3, v[43:44]
	v_mov_b32_e32 v42, v56
	v_mov_b32_e32 v50, v54
	v_add_co_u32 v45, s0, v0, v45
	s_wait_alu 0xf1ff
	v_add_co_ci_u32_e64 v46, s0, v29, v46, s0
	v_mad_co_u64_u32 v[59:60], null, s19, v59, v[42:43]
	v_mov_b32_e32 v53, v47
	v_lshlrev_b64_e32 v[48:49], 3, v[49:50]
	v_add_co_u32 v42, s0, v0, v43
	s_wait_alu 0xf1ff
	v_add_co_ci_u32_e64 v43, s0, v29, v44, s0
	v_mov_b32_e32 v56, v59
	v_lshlrev_b64_e32 v[50:51], 3, v[52:53]
	v_add_co_u32 v47, s0, v0, v48
	s_wait_alu 0xf1ff
	v_add_co_ci_u32_e64 v48, s0, v29, v49, s0
	v_lshlrev_b64_e32 v[52:53], 3, v[55:56]
	s_delay_alu instid0(VALU_DEP_4) | instskip(SKIP_2) | instid1(VALU_DEP_3)
	v_add_co_u32 v62, s0, v0, v50
	s_wait_alu 0xf1ff
	v_add_co_ci_u32_e64 v63, s0, v29, v51, s0
	v_add_co_u32 v66, s0, v0, v52
	s_wait_alu 0xf1ff
	v_add_co_ci_u32_e64 v67, s0, v29, v53, s0
	s_clause 0x7
	global_load_b64 v[49:50], v[38:39], off
	global_load_b64 v[64:65], v[40:41], off
	;; [unrolled: 1-line block ×8, first 2 shown]
	v_dual_mov_b32 v38, 0 :: v_dual_mov_b32 v39, 0
                                        ; implicit-def: $vgpr66
	v_cmpx_gt_u32_e32 28, v68
	s_cbranch_execz .LBB0_14
; %bb.13:
	v_or_b32_e32 v42, 0x2a0, v68
	v_add_nc_u32_e32 v44, 0x55c, v68
	s_delay_alu instid0(VALU_DEP_2) | instskip(NEXT) | instid1(VALU_DEP_2)
	v_mad_co_u64_u32 v[38:39], null, s18, v42, 0
	v_mad_co_u64_u32 v[40:41], null, s18, v44, 0
	s_delay_alu instid0(VALU_DEP_1) | instskip(NEXT) | instid1(VALU_DEP_1)
	v_mad_co_u64_u32 v[42:43], null, s19, v42, v[39:40]
	v_mov_b32_e32 v39, v42
	s_delay_alu instid0(VALU_DEP_3) | instskip(NEXT) | instid1(VALU_DEP_2)
	v_mad_co_u64_u32 v[43:44], null, s19, v44, v[41:42]
	v_lshlrev_b64_e32 v[38:39], 3, v[38:39]
	s_delay_alu instid0(VALU_DEP_2) | instskip(NEXT) | instid1(VALU_DEP_2)
	v_mov_b32_e32 v41, v43
	v_add_co_u32 v38, s0, v0, v38
	s_wait_alu 0xf1ff
	s_delay_alu instid0(VALU_DEP_3) | instskip(NEXT) | instid1(VALU_DEP_3)
	v_add_co_ci_u32_e64 v39, s0, v29, v39, s0
	v_lshlrev_b64_e32 v[40:41], 3, v[40:41]
	s_delay_alu instid0(VALU_DEP_1) | instskip(SKIP_1) | instid1(VALU_DEP_2)
	v_add_co_u32 v40, s0, v0, v40
	s_wait_alu 0xf1ff
	v_add_co_ci_u32_e64 v41, s0, v29, v41, s0
	s_clause 0x1
	global_load_b64 v[38:39], v[38:39], off
	global_load_b64 v[66:67], v[40:41], off
.LBB0_14:
	s_wait_alu 0xfffe
	s_or_b32 exec_lo, exec_lo, s4
.LBB0_15:
	s_delay_alu instid0(SALU_CYCLE_1)
	s_or_b32 exec_lo, exec_lo, s1
	s_wait_loadcnt 0xc
	v_dual_sub_f32 v41, v5, v9 :: v_dual_sub_f32 v84, v23, v27
	v_dual_sub_f32 v43, v7, v11 :: v_dual_sub_f32 v82, v21, v25
	s_wait_loadcnt 0xa
	v_dual_sub_f32 v45, v15, v19 :: v_dual_sub_f32 v86, v30, v36
	s_wait_loadcnt 0x8
	;; [unrolled: 2-line block ×3, first 2 shown]
	v_sub_f32_e32 v90, v49, v64
	s_wait_loadcnt 0x4
	v_sub_f32_e32 v92, v52, v60
	v_fma_f32 v40, v5, 2.0, -v41
	v_fma_f32 v42, v7, 2.0, -v43
	;; [unrolled: 1-line block ×5, first 2 shown]
	v_lshl_add_u32 v21, v68, 3, 0
	s_wait_loadcnt 0x0
	v_sub_f32_e32 v30, v38, v66
	v_lshl_add_u32 v25, v69, 3, 0
	v_lshl_add_u32 v64, v71, 3, 0
	v_add_nc_u32_e32 v66, 0x2a0, v68
	v_fma_f32 v44, v15, 2.0, -v45
	v_lshl_add_u32 v27, v70, 3, 0
	v_lshl_add_u32 v80, v72, 3, 0
	v_fma_f32 v83, v23, 2.0, -v84
	v_fma_f32 v89, v49, 2.0, -v90
	v_sub_f32_e32 v49, v54, v58
	v_lshl_add_u32 v19, v73, 3, 0
	v_fma_f32 v91, v52, 2.0, -v92
	v_sub_f32_e32 v52, v56, v62
	v_lshl_add_u32 v23, v74, 3, 0
	v_fma_f32 v87, v32, 2.0, -v88
	v_lshl_add_u32 v34, v75, 3, 0
	ds_store_b64 v21, v[40:41]
	v_fma_f32 v29, v38, 2.0, -v30
	ds_store_b64 v25, v[42:43]
	ds_store_b64 v27, v[44:45]
	;; [unrolled: 1-line block ×7, first 2 shown]
	v_lshl_add_u32 v32, v76, 3, 0
	v_lshl_add_u32 v38, v77, 3, 0
	;; [unrolled: 1-line block ×4, first 2 shown]
	v_cmp_gt_u32_e64 s0, 28, v68
	v_lshl_add_u32 v81, v66, 3, 0
	v_fma_f32 v48, v54, 2.0, -v49
	v_fma_f32 v51, v56, 2.0, -v52
	ds_store_b64 v32, v[89:90]
	ds_store_b64 v38, v[91:92]
	;; [unrolled: 1-line block ×4, first 2 shown]
	s_and_saveexec_b32 s1, s0
	s_cbranch_execz .LBB0_17
; %bb.16:
	ds_store_b64 v81, v[29:30]
.LBB0_17:
	s_wait_alu 0xfffe
	s_or_b32 exec_lo, exec_lo, s1
	v_lshl_add_u32 v0, v68, 2, 0
	global_wb scope:SCOPE_SE
	s_wait_dscnt 0x0
	s_wait_kmcnt 0x0
	s_barrier_signal -1
	s_barrier_wait -1
	global_inv scope:SCOPE_SE
	v_add_nc_u32_e32 v5, 0x800, v0
	v_add_nc_u32_e32 v7, 0xc00, v0
	v_lshlrev_b32_e32 v82, 2, v74
	v_add_nc_u32_e32 v48, 0x1000, v0
	v_lshlrev_b32_e32 v83, 2, v75
	ds_load_2addr_b32 v[44:45], v5 offset0:188 offset1:244
	ds_load_2addr_b32 v[40:41], v7 offset0:44 offset1:100
	v_lshlrev_b32_e32 v5, 2, v73
	v_lshl_add_u32 v54, v69, 2, 0
	v_lshlrev_b32_e32 v93, 2, v76
	v_lshl_add_u32 v56, v70, 2, 0
	;; [unrolled: 2-line block ×4, first 2 shown]
	v_sub_nc_u32_e32 v17, v19, v5
	v_sub_nc_u32_e32 v49, v23, v82
	v_lshlrev_b32_e32 v95, 2, v79
	ds_load_2addr_b32 v[46:47], v7 offset0:156 offset1:212
	ds_load_2addr_b32 v[42:43], v48 offset0:12 offset1:68
	v_sub_nc_u32_e32 v51, v34, v83
	ds_load_b32 v7, v0
	ds_load_b32 v9, v54
	ds_load_b32 v11, v56
	ds_load_b32 v13, v58
	ds_load_b32 v15, v60
	ds_load_b32 v17, v17
	ds_load_b32 v84, v49
	ds_load_b32 v85, v51
	v_add_nc_u32_e32 v49, 0x1200, v0
	v_sub_nc_u32_e32 v86, v32, v93
	v_sub_nc_u32_e32 v87, v38, v96
	;; [unrolled: 1-line block ×4, first 2 shown]
	ds_load_2addr_b32 v[51:52], v48 offset0:124 offset1:180
	ds_load_2addr_b32 v[48:49], v49 offset0:108 offset1:164
	ds_load_b32 v86, v86
	ds_load_b32 v87, v87
	;; [unrolled: 1-line block ×4, first 2 shown]
	s_and_saveexec_b32 s1, s0
	s_cbranch_execz .LBB0_19
; %bb.18:
	ds_load_b32 v29, v0 offset:2688
	ds_load_b32 v30, v0 offset:5488
.LBB0_19:
	s_wait_alu 0xfffe
	s_or_b32 exec_lo, exec_lo, s1
	v_sub_nc_u32_e32 v92, 0, v82
	v_sub_nc_u32_e32 v82, 0, v96
	v_sub_f32_e32 v96, v6, v10
	v_sub_nc_u32_e32 v10, 0, v95
	v_sub_f32_e32 v98, v8, v12
	v_sub_f32_e32 v100, v16, v20
	v_sub_nc_u32_e32 v12, 0, v94
	v_fma_f32 v95, v6, 2.0, -v96
	v_sub_f32_e32 v6, v39, v67
	v_sub_f32_e32 v94, v14, v18
	;; [unrolled: 1-line block ×3, first 2 shown]
	v_sub_nc_u32_e32 v91, 0, v5
	v_sub_nc_u32_e32 v90, 0, v83
	;; [unrolled: 1-line block ×3, first 2 shown]
	v_sub_f32_e32 v104, v24, v28
	v_sub_f32_e32 v106, v31, v37
	;; [unrolled: 1-line block ×7, first 2 shown]
	v_fma_f32 v5, v39, 2.0, -v6
	v_fma_f32 v97, v8, 2.0, -v98
	;; [unrolled: 1-line block ×12, first 2 shown]
	global_wb scope:SCOPE_SE
	s_wait_dscnt 0x0
	s_barrier_signal -1
	s_barrier_wait -1
	global_inv scope:SCOPE_SE
	ds_store_b64 v21, v[95:96]
	ds_store_b64 v25, v[97:98]
	;; [unrolled: 1-line block ×12, first 2 shown]
	s_and_saveexec_b32 s1, s0
	s_cbranch_execz .LBB0_21
; %bb.20:
	ds_store_b64 v81, v[5:6]
.LBB0_21:
	s_wait_alu 0xfffe
	s_or_b32 exec_lo, exec_lo, s1
	v_add_nc_u32_e32 v8, 0x800, v0
	v_add_nc_u32_e32 v14, 0xc00, v0
	global_wb scope:SCOPE_SE
	s_wait_dscnt 0x0
	s_barrier_signal -1
	s_barrier_wait -1
	global_inv scope:SCOPE_SE
	ds_load_2addr_b32 v[21:22], v8 offset0:188 offset1:244
	v_add_nc_u32_e32 v8, 0x1000, v0
	ds_load_2addr_b32 v[27:28], v14 offset0:44 offset1:100
	ds_load_2addr_b32 v[25:26], v14 offset0:156 offset1:212
	v_add_nc_u32_e32 v14, 0x1200, v0
	v_add_nc_u32_e32 v81, v32, v83
	v_add_nc_u32_e32 v53, v19, v91
	v_add_nc_u32_e32 v67, v23, v92
	ds_load_2addr_b32 v[19:20], v8 offset0:12 offset1:68
	v_add_nc_u32_e32 v80, v34, v90
	ds_load_b32 v99, v0
	ds_load_b32 v100, v54
	;; [unrolled: 1-line block ×8, first 2 shown]
	v_add_nc_u32_e32 v82, v38, v82
	v_add_nc_u32_e32 v55, v62, v12
	v_add_nc_u32_e32 v83, v36, v10
	ds_load_2addr_b32 v[31:32], v8 offset0:124 offset1:180
	ds_load_2addr_b32 v[23:24], v14 offset0:108 offset1:164
	ds_load_b32 v95, v81
	ds_load_b32 v96, v82
	;; [unrolled: 1-line block ×4, first 2 shown]
	v_lshlrev_b32_e32 v65, 1, v68
	v_lshlrev_b32_e32 v64, 1, v69
	;; [unrolled: 1-line block ×12, first 2 shown]
	s_and_saveexec_b32 s1, s0
	s_cbranch_execz .LBB0_23
; %bb.22:
	ds_load_b32 v5, v0 offset:2688
	ds_load_b32 v6, v0 offset:5488
.LBB0_23:
	s_wait_alu 0xfffe
	s_or_b32 exec_lo, exec_lo, s1
	v_and_b32_e32 v74, 1, v68
	s_delay_alu instid0(VALU_DEP_1)
	v_lshlrev_b32_e32 v8, 3, v74
	v_and_or_b32 v73, 0x3fc, v50, v74
	global_load_b64 v[33:34], v8, s[8:9]
	v_lshl_add_u32 v110, v73, 2, 0
	global_wb scope:SCOPE_SE
	s_wait_loadcnt_dscnt 0x0
	s_barrier_signal -1
	s_barrier_wait -1
	global_inv scope:SCOPE_SE
	v_mul_f32_e32 v73, v20, v34
	v_and_or_b32 v12, 0x1fc, v63, v74
	v_and_or_b32 v75, 0x3fc, v39, v74
	;; [unrolled: 1-line block ×5, first 2 shown]
	v_lshl_add_u32 v105, v12, 2, 0
	v_mul_f32_e32 v12, v27, v34
	v_lshl_add_u32 v111, v75, 2, 0
	v_lshl_add_u32 v103, v8, 2, 0
	v_lshl_add_u32 v113, v77, 2, 0
	v_mul_f32_e32 v77, v23, v34
	v_fma_f32 v12, v40, v33, -v12
	v_mul_f32_e32 v79, v6, v34
	v_and_or_b32 v14, 0x1fc, v62, v74
	v_and_or_b32 v16, 0x3fc, v61, v74
	;; [unrolled: 1-line block ×3, first 2 shown]
	v_sub_f32_e32 v12, v11, v12
	v_fma_f32 v79, v30, v33, -v79
	v_mul_f32_e32 v75, v31, v34
	v_and_or_b32 v76, 0x7fc, v38, v74
	v_and_or_b32 v78, 0x5fc, v36, v74
	v_lshl_add_u32 v104, v10, 2, 0
	v_fma_f32 v77, v48, v33, -v77
	v_fma_f32 v75, v51, v33, -v75
	v_mul_f32_e32 v8, v21, v34
	v_mul_f32_e32 v10, v22, v34
	v_lshl_add_u32 v106, v14, 2, 0
	v_sub_f32_e32 v77, v88, v77
	v_sub_f32_e32 v75, v86, v75
	v_fma_f32 v8, v44, v33, -v8
	v_lshlrev_b32_e32 v35, 1, v66
	v_and_or_b32 v66, 0x3fc, v57, v74
	v_mul_f32_e32 v14, v28, v34
	v_lshl_add_u32 v107, v16, 2, 0
	v_sub_f32_e32 v8, v7, v8
	v_mul_f32_e32 v16, v25, v34
	v_lshl_add_u32 v109, v66, 2, 0
	v_mul_f32_e32 v66, v19, v34
	v_lshl_add_u32 v108, v18, 2, 0
	v_lshl_add_u32 v112, v76, 2, 0
	;; [unrolled: 1-line block ×3, first 2 shown]
	v_mul_f32_e32 v18, v26, v34
	v_mul_f32_e32 v76, v32, v34
	;; [unrolled: 1-line block ×3, first 2 shown]
	v_fma_f32 v66, v42, v33, -v66
	v_fma_f32 v10, v45, v33, -v10
	;; [unrolled: 1-line block ×8, first 2 shown]
	v_sub_f32_e32 v102, v84, v66
	v_sub_f32_e32 v66, v29, v79
	;; [unrolled: 1-line block ×6, first 2 shown]
	v_dual_sub_f32 v115, v85, v73 :: v_dual_sub_f32 v76, v87, v76
	v_sub_f32_e32 v78, v89, v78
	v_fma_f32 v7, v7, 2.0, -v8
	v_fma_f32 v73, v29, 2.0, -v66
	;; [unrolled: 1-line block ×13, first 2 shown]
	ds_store_2addr_b32 v103, v7, v8 offset1:2
	ds_store_2addr_b32 v104, v9, v10 offset1:2
	;; [unrolled: 1-line block ×12, first 2 shown]
	s_and_saveexec_b32 s1, s0
	s_cbranch_execz .LBB0_25
; %bb.24:
	v_and_or_b32 v7, 0x57c, v35, v74
	s_delay_alu instid0(VALU_DEP_1)
	v_lshl_add_u32 v7, v7, 2, 0
	ds_store_2addr_b32 v7, v73, v66 offset1:2
.LBB0_25:
	s_wait_alu 0xfffe
	s_or_b32 exec_lo, exec_lo, s1
	v_add_nc_u32_e32 v7, 0x800, v0
	v_add_nc_u32_e32 v8, 0xc00, v0
	;; [unrolled: 1-line block ×4, first 2 shown]
	global_wb scope:SCOPE_SE
	s_wait_dscnt 0x0
	s_barrier_signal -1
	s_barrier_wait -1
	global_inv scope:SCOPE_SE
	ds_load_2addr_b32 v[17:18], v7 offset0:188 offset1:244
	ds_load_2addr_b32 v[15:16], v8 offset0:44 offset1:100
	;; [unrolled: 1-line block ×4, first 2 shown]
	ds_load_b32 v75, v0
	ds_load_b32 v76, v54
	;; [unrolled: 1-line block ×8, first 2 shown]
	ds_load_2addr_b32 v[13:14], v9 offset0:124 offset1:180
	ds_load_2addr_b32 v[9:10], v10 offset0:108 offset1:164
	ds_load_b32 v87, v81
	ds_load_b32 v88, v82
	;; [unrolled: 1-line block ×4, first 2 shown]
	s_and_saveexec_b32 s1, s0
	s_cbranch_execz .LBB0_27
; %bb.26:
	ds_load_b32 v73, v0 offset:2688
	ds_load_b32 v66, v0 offset:5488
.LBB0_27:
	s_wait_alu 0xfffe
	s_or_b32 exec_lo, exec_lo, s1
	v_mul_f32_e32 v29, v44, v34
	v_mul_f32_e32 v41, v41, v34
	;; [unrolled: 1-line block ×3, first 2 shown]
	global_wb scope:SCOPE_SE
	s_wait_dscnt 0x0
	s_barrier_signal -1
	s_barrier_wait -1
	v_fmac_f32_e32 v41, v28, v33
	v_fmac_f32_e32 v44, v22, v33
	v_dual_mul_f32 v40, v40, v34 :: v_dual_fmac_f32 v29, v21, v33
	v_mul_f32_e32 v22, v42, v34
	v_mul_f32_e32 v45, v46, v34
	global_inv scope:SCOPE_SE
	v_fmac_f32_e32 v40, v27, v33
	v_mul_f32_e32 v21, v47, v34
	v_fmac_f32_e32 v22, v19, v33
	v_fmac_f32_e32 v45, v25, v33
	v_mul_f32_e32 v25, v43, v34
	v_mul_f32_e32 v28, v48, v34
	;; [unrolled: 1-line block ×3, first 2 shown]
	s_delay_alu instid0(VALU_DEP_3)
	v_dual_sub_f32 v22, v93, v22 :: v_dual_fmac_f32 v25, v20, v33
	v_mul_f32_e32 v20, v30, v34
	v_dual_sub_f32 v30, v101, v40 :: v_dual_fmac_f32 v21, v26, v33
	v_mul_f32_e32 v26, v51, v34
	v_dual_mul_f32 v27, v52, v34 :: v_dual_fmac_f32 v28, v23, v33
	v_sub_f32_e32 v23, v99, v29
	v_fmac_f32_e32 v20, v6, v33
	s_delay_alu instid0(VALU_DEP_4) | instskip(NEXT) | instid1(VALU_DEP_4)
	v_fmac_f32_e32 v26, v31, v33
	v_fmac_f32_e32 v27, v32, v33
	;; [unrolled: 1-line block ×3, first 2 shown]
	s_delay_alu instid0(VALU_DEP_4) | instskip(SKIP_1) | instid1(VALU_DEP_4)
	v_dual_sub_f32 v25, v94, v25 :: v_dual_sub_f32 v40, v5, v20
	v_dual_sub_f32 v29, v100, v44 :: v_dual_sub_f32 v32, v90, v41
	v_dual_sub_f32 v34, v91, v45 :: v_dual_sub_f32 v27, v96, v27
	v_fma_f32 v6, v99, 2.0, -v23
	v_dual_sub_f32 v21, v92, v21 :: v_dual_sub_f32 v28, v97, v28
	v_dual_sub_f32 v26, v95, v26 :: v_dual_sub_f32 v19, v98, v19
	v_fma_f32 v33, v5, 2.0, -v40
	v_fma_f32 v24, v100, 2.0, -v29
	v_fma_f32 v31, v101, 2.0, -v30
	v_fma_f32 v41, v90, 2.0, -v32
	v_fma_f32 v42, v91, 2.0, -v34
	v_fma_f32 v43, v92, 2.0, -v21
	v_fma_f32 v44, v93, 2.0, -v22
	v_fma_f32 v45, v94, 2.0, -v25
	v_fma_f32 v20, v95, 2.0, -v26
	v_fma_f32 v46, v96, 2.0, -v27
	v_fma_f32 v47, v97, 2.0, -v28
	v_fma_f32 v48, v98, 2.0, -v19
	ds_store_2addr_b32 v103, v6, v23 offset1:2
	ds_store_2addr_b32 v104, v24, v29 offset1:2
	ds_store_2addr_b32 v105, v31, v30 offset1:2
	ds_store_2addr_b32 v106, v41, v32 offset1:2
	ds_store_2addr_b32 v107, v42, v34 offset1:2
	ds_store_2addr_b32 v108, v43, v21 offset1:2
	ds_store_2addr_b32 v109, v44, v22 offset1:2
	ds_store_2addr_b32 v110, v45, v25 offset1:2
	ds_store_2addr_b32 v111, v20, v26 offset1:2
	ds_store_2addr_b32 v112, v46, v27 offset1:2
	ds_store_2addr_b32 v113, v47, v28 offset1:2
	ds_store_2addr_b32 v114, v48, v19 offset1:2
	s_and_saveexec_b32 s1, s0
	s_cbranch_execz .LBB0_29
; %bb.28:
	v_and_or_b32 v5, 0x57c, v35, v74
	s_delay_alu instid0(VALU_DEP_1)
	v_lshl_add_u32 v5, v5, 2, 0
	ds_store_2addr_b32 v5, v33, v40 offset1:2
.LBB0_29:
	s_wait_alu 0xfffe
	s_or_b32 exec_lo, exec_lo, s1
	v_add_nc_u32_e32 v5, 0x800, v0
	v_add_nc_u32_e32 v6, 0xc00, v0
	;; [unrolled: 1-line block ×3, first 2 shown]
	global_wb scope:SCOPE_SE
	s_wait_dscnt 0x0
	s_barrier_signal -1
	s_barrier_wait -1
	global_inv scope:SCOPE_SE
	ds_load_2addr_b32 v[29:30], v5 offset0:188 offset1:244
	ds_load_2addr_b32 v[27:28], v6 offset0:44 offset1:100
	;; [unrolled: 1-line block ×4, first 2 shown]
	v_add_nc_u32_e32 v6, 0x1200, v0
	ds_load_b32 v47, v0
	ds_load_b32 v48, v54
	;; [unrolled: 1-line block ×8, first 2 shown]
	ds_load_2addr_b32 v[23:24], v19 offset0:124 offset1:180
	ds_load_2addr_b32 v[19:20], v6 offset0:108 offset1:164
	ds_load_b32 v45, v81
	ds_load_b32 v46, v82
	;; [unrolled: 1-line block ×4, first 2 shown]
	s_and_saveexec_b32 s1, s0
	s_cbranch_execz .LBB0_31
; %bb.30:
	ds_load_b32 v33, v0 offset:2688
	ds_load_b32 v40, v0 offset:5488
.LBB0_31:
	s_wait_alu 0xfffe
	s_or_b32 exec_lo, exec_lo, s1
	v_and_b32_e32 v34, 3, v68
	s_delay_alu instid0(VALU_DEP_1)
	v_lshlrev_b32_e32 v6, 3, v34
	v_and_or_b32 v64, 0xf8, v64, v34
	v_and_or_b32 v74, 0x3f8, v50, v34
	;; [unrolled: 1-line block ×3, first 2 shown]
	global_load_b64 v[31:32], v6, s[8:9] offset:16
	v_lshl_add_u32 v50, v64, 2, 0
	v_lshl_add_u32 v64, v74, 2, 0
	;; [unrolled: 1-line block ×3, first 2 shown]
	global_wb scope:SCOPE_SE
	s_wait_loadcnt_dscnt 0x0
	s_barrier_signal -1
	s_barrier_wait -1
	global_inv scope:SCOPE_SE
	v_mul_f32_e32 v37, v30, v32
	v_mul_f32_e32 v91, v23, v32
	;; [unrolled: 1-line block ×5, first 2 shown]
	v_fma_f32 v37, v18, v31, -v37
	v_fma_f32 v91, v13, v31, -v91
	v_mul_f32_e32 v90, v22, v32
	v_fma_f32 v94, v10, v31, -v94
	v_mul_f32_e32 v93, v19, v32
	v_sub_f32_e32 v37, v76, v37
	v_and_or_b32 v6, 0x78, v65, v34
	v_and_or_b32 v62, 0x1f8, v62, v34
	v_sub_f32_e32 v94, v102, v94
	v_and_or_b32 v65, 0x2f8, v59, v34
	v_and_or_b32 v39, 0x3f8, v39, v34
	v_and_or_b32 v63, 0x1f8, v63, v34
	v_lshl_add_u32 v59, v62, 2, 0
	v_and_or_b32 v67, 0x3f8, v57, v34
	v_lshl_add_u32 v62, v65, 2, 0
	v_lshl_add_u32 v65, v39, 2, 0
	v_mul_f32_e32 v39, v28, v32
	v_and_or_b32 v38, 0x7f8, v38, v34
	v_sub_f32_e32 v91, v87, v91
	v_fma_f32 v90, v8, v31, -v90
	v_mul_f32_e32 v83, v21, v32
	v_and_or_b32 v80, 0x5f8, v36, v34
	v_lshl_add_u32 v36, v6, 2, 0
	v_fma_f32 v39, v16, v31, -v39
	v_sub_f32_e32 v90, v86, v90
	v_mul_f32_e32 v6, v29, v32
	v_lshl_add_u32 v57, v63, 2, 0
	v_lshl_add_u32 v63, v67, 2, 0
	v_sub_f32_e32 v39, v78, v39
	v_lshl_add_u32 v67, v38, 2, 0
	v_fma_f32 v83, v7, v31, -v83
	v_mul_f32_e32 v38, v27, v32
	v_fma_f32 v82, v12, v31, -v82
	v_mul_f32_e32 v81, v25, v32
	v_fma_f32 v6, v17, v31, -v6
	v_fma_f32 v93, v9, v31, -v93
	v_dual_mul_f32 v92, v24, v32 :: v_dual_sub_f32 v83, v85, v83
	v_fma_f32 v38, v15, v31, -v38
	s_delay_alu instid0(VALU_DEP_3)
	v_dual_sub_f32 v82, v84, v82 :: v_dual_sub_f32 v93, v89, v93
	v_fma_f32 v81, v11, v31, -v81
	v_and_or_b32 v61, 0x3f8, v61, v34
	v_fma_f32 v92, v14, v31, -v92
	v_fma_f32 v95, v66, v31, -v95
	v_sub_f32_e32 v96, v75, v6
	v_dual_sub_f32 v38, v77, v38 :: v_dual_sub_f32 v81, v79, v81
	v_lshl_add_u32 v61, v61, 2, 0
	v_lshl_add_u32 v80, v80, 2, 0
	v_sub_f32_e32 v92, v88, v92
	v_sub_f32_e32 v6, v73, v95
	v_fma_f32 v75, v75, 2.0, -v96
	v_fma_f32 v76, v76, 2.0, -v37
	;; [unrolled: 1-line block ×12, first 2 shown]
	ds_store_2addr_b32 v36, v75, v96 offset1:4
	ds_store_2addr_b32 v50, v76, v37 offset1:4
	;; [unrolled: 1-line block ×12, first 2 shown]
	s_and_saveexec_b32 s1, s0
	s_cbranch_execz .LBB0_33
; %bb.32:
	v_and_or_b32 v37, 0x578, v35, v34
	v_fma_f32 v38, v73, 2.0, -v6
	s_delay_alu instid0(VALU_DEP_2)
	v_lshl_add_u32 v37, v37, 2, 0
	ds_store_2addr_b32 v37, v38, v6 offset1:4
.LBB0_33:
	s_wait_alu 0xfffe
	s_or_b32 exec_lo, exec_lo, s1
	v_mul_f32_e32 v11, v11, v32
	v_mul_f32_e32 v16, v16, v32
	;; [unrolled: 1-line block ×4, first 2 shown]
	s_delay_alu instid0(VALU_DEP_4) | instskip(NEXT) | instid1(VALU_DEP_4)
	v_dual_mul_f32 v8, v8, v32 :: v_dual_fmac_f32 v11, v25, v31
	v_dual_mul_f32 v15, v15, v32 :: v_dual_fmac_f32 v16, v28, v31
	s_delay_alu instid0(VALU_DEP_2) | instskip(NEXT) | instid1(VALU_DEP_2)
	v_dual_mul_f32 v7, v7, v32 :: v_dual_fmac_f32 v8, v22, v31
	v_dual_mul_f32 v12, v12, v32 :: v_dual_fmac_f32 v15, v27, v31
	v_fmac_f32_e32 v18, v30, v31
	v_fmac_f32_e32 v17, v29, v31
	s_delay_alu instid0(VALU_DEP_4) | instskip(NEXT) | instid1(VALU_DEP_4)
	v_fmac_f32_e32 v7, v21, v31
	v_fmac_f32_e32 v12, v26, v31
	v_mul_f32_e32 v14, v14, v32
	v_mul_f32_e32 v13, v13, v32
	;; [unrolled: 1-line block ×4, first 2 shown]
	v_dual_mul_f32 v66, v66, v32 :: v_dual_sub_f32 v73, v47, v17
	v_fmac_f32_e32 v14, v24, v31
	v_fmac_f32_e32 v13, v23, v31
	v_fmac_f32_e32 v10, v20, v31
	v_fmac_f32_e32 v9, v19, v31
	v_dual_fmac_f32 v66, v40, v31 :: v_dual_sub_f32 v77, v51, v16
	v_dual_sub_f32 v78, v52, v11 :: v_dual_sub_f32 v79, v5, v12
	v_dual_sub_f32 v81, v43, v7 :: v_dual_sub_f32 v82, v44, v8
	s_delay_alu instid0(VALU_DEP_3)
	v_dual_sub_f32 v8, v33, v66 :: v_dual_add_nc_u32 v11, 0xc00, v0
	v_add_nc_u32_e32 v7, 0x1000, v0
	v_add_nc_u32_e32 v37, 0x400, v0
	v_dual_sub_f32 v75, v48, v18 :: v_dual_add_nc_u32 v38, 0x800, v0
	v_sub_f32_e32 v76, v49, v15
	v_dual_sub_f32 v83, v45, v13 :: v_dual_sub_f32 v84, v46, v14
	v_fma_f32 v85, v5, 2.0, -v79
	v_fma_f32 v86, v43, 2.0, -v81
	v_dual_sub_f32 v87, v41, v9 :: v_dual_sub_f32 v88, v42, v10
	global_wb scope:SCOPE_SE
	s_wait_dscnt 0x0
	s_barrier_signal -1
	s_barrier_wait -1
	global_inv scope:SCOPE_SE
	ds_load_b32 v5, v55
	ds_load_2addr_b32 v[29:30], v11 offset0:72 offset1:128
	ds_load_2addr_b32 v[13:14], v7 offset0:40 offset1:96
	;; [unrolled: 1-line block ×6, first 2 shown]
	v_add_nc_u32_e32 v12, 0xa00, v0
	v_add_nc_u32_e32 v43, 0x1400, v0
	ds_load_b32 v40, v0
	ds_load_b32 v39, v54
	;; [unrolled: 1-line block ×4, first 2 shown]
	ds_load_2addr_b32 v[23:24], v37 offset0:192 offset1:248
	ds_load_2addr_b32 v[21:22], v12 offset0:88 offset1:144
	;; [unrolled: 1-line block ×3, first 2 shown]
	ds_load_b32 v9, v53
	ds_load_b32 v10, v60
	v_fma_f32 v47, v47, 2.0, -v73
	v_fma_f32 v48, v48, 2.0, -v75
	;; [unrolled: 1-line block ×10, first 2 shown]
	global_wb scope:SCOPE_SE
	s_wait_dscnt 0x0
	s_barrier_signal -1
	s_barrier_wait -1
	global_inv scope:SCOPE_SE
	ds_store_2addr_b32 v36, v47, v73 offset1:4
	ds_store_2addr_b32 v50, v48, v75 offset1:4
	;; [unrolled: 1-line block ×12, first 2 shown]
	s_and_saveexec_b32 s1, s0
	s_cbranch_execz .LBB0_35
; %bb.34:
	v_and_or_b32 v34, 0x578, v35, v34
	v_fma_f32 v33, v33, 2.0, -v8
	s_delay_alu instid0(VALU_DEP_2)
	v_lshl_add_u32 v34, v34, 2, 0
	ds_store_2addr_b32 v34, v33, v8 offset1:4
.LBB0_35:
	s_wait_alu 0xfffe
	s_or_b32 exec_lo, exec_lo, s1
	v_and_b32_e32 v41, 7, v68
	global_wb scope:SCOPE_SE
	s_wait_dscnt 0x0
	s_barrier_signal -1
	s_barrier_wait -1
	global_inv scope:SCOPE_SE
	v_lshlrev_b32_e32 v33, 5, v41
	v_lshrrev_b32_e32 v44, 3, v70
	v_lshrrev_b32_e32 v45, 3, v71
	;; [unrolled: 1-line block ×4, first 2 shown]
	s_clause 0x1
	global_load_b128 v[61:64], v33, s[8:9] offset:48
	global_load_b128 v[101:104], v33, s[8:9] offset:64
	ds_load_2addr_b32 v[65:66], v11 offset0:72 offset1:128
	ds_load_2addr_b32 v[105:106], v7 offset0:40 offset1:96
	;; [unrolled: 1-line block ×6, first 2 shown]
	ds_load_b32 v36, v0
	ds_load_b32 v35, v54
	;; [unrolled: 1-line block ×4, first 2 shown]
	ds_load_2addr_b32 v[111:112], v37 offset0:192 offset1:248
	ds_load_2addr_b32 v[113:114], v12 offset0:88 offset1:144
	;; [unrolled: 1-line block ×3, first 2 shown]
	ds_load_b32 v57, v55
	ds_load_b32 v67, v53
	;; [unrolled: 1-line block ×3, first 2 shown]
	v_lshrrev_b32_e32 v43, 3, v69
	v_mul_lo_u32 v44, v44, 40
	v_mul_lo_u32 v45, v45, 40
	v_mul_u32_u24_e32 v42, 40, v42
	v_mul_lo_u32 v46, v46, 40
	v_mul_lo_u32 v43, v43, 40
	global_wb scope:SCOPE_SE
	s_wait_loadcnt_dscnt 0x0
	s_barrier_signal -1
	s_barrier_wait -1
	global_inv scope:SCOPE_SE
	v_cmp_gt_u32_e64 s0, 32, v68
	v_dual_mul_f32 v86, v57, v64 :: v_dual_mul_f32 v85, v67, v62
	v_mul_f32_e32 v92, v5, v64
	v_dual_mul_f32 v91, v9, v62 :: v_dual_mul_f32 v88, v106, v104
	v_dual_mul_f32 v87, v65, v102 :: v_dual_mul_f32 v96, v79, v64
	v_mul_f32_e32 v90, v29, v102
	v_or_b32_e32 v42, v42, v41
	v_or_b32_e32 v43, v43, v41
	;; [unrolled: 1-line block ×4, first 2 shown]
	v_dual_mul_f32 v89, v14, v104 :: v_dual_mul_f32 v94, v77, v62
	v_dual_mul_f32 v81, v27, v62 :: v_dual_mul_f32 v82, v25, v64
	;; [unrolled: 1-line block ×12, first 2 shown]
	v_or_b32_e32 v41, v46, v41
	v_lshl_add_u32 v45, v42, 2, 0
	v_lshl_add_u32 v44, v43, 2, 0
	;; [unrolled: 1-line block ×4, first 2 shown]
	v_mul_f32_e32 v75, v15, v102
	v_dual_mul_f32 v47, v24, v62 :: v_dual_mul_f32 v48, v22, v64
	v_dual_mul_f32 v62, v114, v64 :: v_dual_mul_f32 v127, v105, v102
	;; [unrolled: 1-line block ×3, first 2 shown]
	v_mul_f32_e32 v102, v116, v104
	v_fma_f32 v97, v29, v101, -v87
	v_fma_f32 v93, v30, v101, -v93
	v_dual_fmac_f32 v83, v66, v101 :: v_dual_fmac_f32 v92, v57, v63
	v_fma_f32 v98, v9, v61, -v85
	v_fma_f32 v99, v5, v63, -v86
	;; [unrolled: 1-line block ×4, first 2 shown]
	v_dual_fmac_f32 v81, v77, v61 :: v_dual_fmac_f32 v82, v79, v63
	v_fma_f32 v94, v25, v63, -v96
	v_fma_f32 v96, v19, v103, -v117
	;; [unrolled: 1-line block ×7, first 2 shown]
	v_dual_fmac_f32 v91, v67, v61 :: v_dual_fmac_f32 v74, v80, v63
	v_dual_fmac_f32 v84, v107, v103 :: v_dual_fmac_f32 v73, v78, v61
	v_fma_f32 v77, v21, v63, -v123
	v_fma_f32 v78, v16, v101, -v124
	;; [unrolled: 1-line block ×4, first 2 shown]
	v_dual_fmac_f32 v90, v65, v101 :: v_dual_fmac_f32 v89, v106, v103
	v_dual_fmac_f32 v75, v109, v101 :: v_dual_fmac_f32 v76, v108, v103
	;; [unrolled: 1-line block ×5, first 2 shown]
	v_fma_f32 v64, v22, v63, -v62
	v_fma_f32 v65, v13, v101, -v127
	v_dual_fmac_f32 v49, v105, v101 :: v_dual_fmac_f32 v46, v116, v103
	v_fma_f32 v67, v18, v103, -v102
	v_dual_add_f32 v5, v40, v98 :: v_dual_add_f32 v20, v39, v95
	v_dual_add_f32 v9, v99, v97 :: v_dual_sub_f32 v14, v92, v90
	v_dual_sub_f32 v15, v98, v99 :: v_dual_sub_f32 v16, v100, v97
	v_dual_add_f32 v17, v98, v100 :: v_dual_sub_f32 v18, v99, v98
	v_dual_sub_f32 v19, v97, v100 :: v_dual_sub_f32 v24, v95, v94
	v_dual_add_f32 v21, v94, v93 :: v_dual_add_f32 v26, v95, v96
	v_dual_sub_f32 v23, v82, v83 :: v_dual_sub_f32 v28, v93, v96
	v_dual_sub_f32 v25, v96, v93 :: v_dual_add_f32 v30, v85, v86
	v_dual_sub_f32 v27, v94, v95 :: v_dual_sub_f32 v108, v79, v77
	v_dual_sub_f32 v63, v88, v86 :: v_dual_add_f32 v104, v31, v79
	v_dual_add_f32 v101, v87, v88 :: v_dual_sub_f32 v106, v50, v59
	v_dual_add_f32 v29, v32, v87 :: v_dual_add_f32 v110, v79, v80
	v_dual_sub_f32 v57, v87, v85 :: v_dual_sub_f32 v102, v85, v87
	v_dual_add_f32 v105, v77, v78 :: v_dual_sub_f32 v112, v78, v80
	v_add_f32_e32 v113, v10, v66
	v_dual_sub_f32 v13, v91, v89 :: v_dual_sub_f32 v22, v81, v84
	v_dual_sub_f32 v103, v86, v88 :: v_dual_add_f32 v114, v64, v65
	v_dual_sub_f32 v109, v80, v78 :: v_dual_sub_f32 v118, v67, v65
	v_dual_sub_f32 v111, v77, v79 :: v_dual_sub_f32 v120, v64, v66
	v_sub_f32_e32 v115, v47, v46
	v_add_f32_e32 v119, v66, v67
	v_sub_f32_e32 v121, v65, v67
	v_add_f32_e32 v15, v15, v16
	v_fma_f32 v16, -0.5, v9, v40
	v_dual_fmac_f32 v40, -0.5, v17 :: v_dual_add_f32 v17, v18, v19
	v_add_f32_e32 v18, v24, v25
	v_fma_f32 v25, -0.5, v30, v32
	v_add_f32_e32 v30, v108, v109
	v_dual_fmac_f32 v32, -0.5, v101 :: v_dual_add_f32 v19, v20, v94
	v_fma_f32 v20, -0.5, v21, v39
	v_dual_add_f32 v21, v27, v28 :: v_dual_add_f32 v28, v104, v77
	v_add_f32_e32 v9, v5, v99
	v_dual_sub_f32 v61, v73, v76 :: v_dual_sub_f32 v62, v74, v75
	v_dual_sub_f32 v107, v51, v52 :: v_dual_sub_f32 v116, v48, v49
	v_dual_sub_f32 v117, v66, v64 :: v_dual_add_f32 v24, v29, v85
	v_dual_fmac_f32 v39, -0.5, v26 :: v_dual_fmamk_f32 v104, v13, 0x3f737871, v16
	v_add_f32_e32 v26, v57, v63
	v_fma_f32 v29, -0.5, v105, v31
	v_dual_fmac_f32 v31, -0.5, v110 :: v_dual_fmamk_f32 v108, v22, 0x3f737871, v20
	v_dual_add_f32 v57, v113, v64 :: v_dual_add_f32 v24, v24, v86
	v_add_f32_e32 v27, v102, v103
	v_fma_f32 v5, -0.5, v114, v10
	v_fmac_f32_e32 v10, -0.5, v119
	v_add_f32_e32 v102, v120, v121
	v_add_f32_e32 v103, v9, v97
	v_dual_fmamk_f32 v105, v14, 0xbf737871, v40 :: v_dual_add_f32 v28, v28, v78
	v_fmac_f32_e32 v40, 0x3f737871, v14
	v_dual_fmac_f32 v16, 0xbf737871, v13 :: v_dual_add_f32 v63, v111, v112
	v_fmac_f32_e32 v20, 0xbf737871, v22
	v_dual_add_f32 v101, v117, v118 :: v_dual_fmamk_f32 v112, v106, 0x3f737871, v29
	v_dual_add_f32 v19, v19, v93 :: v_dual_fmamk_f32 v110, v61, 0x3f737871, v25
	v_dual_fmamk_f32 v109, v23, 0xbf737871, v39 :: v_dual_add_f32 v114, v57, v65
	v_fmac_f32_e32 v39, 0x3f737871, v23
	v_fmac_f32_e32 v25, 0xbf737871, v61
	v_fmamk_f32 v111, v62, 0xbf737871, v32
	v_fmac_f32_e32 v32, 0x3f737871, v62
	v_fmac_f32_e32 v29, 0xbf737871, v106
	v_fmamk_f32 v113, v107, 0xbf737871, v31
	v_fmac_f32_e32 v31, 0x3f737871, v107
	v_fmamk_f32 v57, v115, 0x3f737871, v5
	;; [unrolled: 2-line block ×3, first 2 shown]
	v_fmac_f32_e32 v10, 0x3f737871, v116
	v_dual_add_f32 v103, v103, v100 :: v_dual_fmac_f32 v104, 0x3f167918, v14
	v_dual_fmac_f32 v105, 0x3f167918, v13 :: v_dual_fmac_f32 v108, 0x3f167918, v23
	v_dual_fmac_f32 v40, 0xbf167918, v13 :: v_dual_fmac_f32 v39, 0xbf167918, v22
	v_dual_fmac_f32 v16, 0xbf167918, v14 :: v_dual_add_f32 v13, v19, v96
	v_dual_fmac_f32 v109, 0x3f167918, v22 :: v_dual_fmac_f32 v112, 0x3f167918, v107
	v_add_f32_e32 v14, v24, v88
	v_dual_fmac_f32 v20, 0xbf167918, v23 :: v_dual_fmac_f32 v25, 0xbf167918, v62
	v_dual_fmac_f32 v32, 0xbf167918, v61 :: v_dual_add_f32 v19, v28, v80
	v_dual_fmac_f32 v31, 0xbf167918, v106 :: v_dual_fmac_f32 v10, 0xbf167918, v115
	v_add_f32_e32 v22, v114, v67
	v_fmac_f32_e32 v29, 0xbf167918, v107
	v_dual_fmac_f32 v110, 0x3f167918, v62 :: v_dual_fmac_f32 v111, 0x3f167918, v61
	v_fmac_f32_e32 v113, 0x3f167918, v106
	v_fmac_f32_e32 v57, 0x3f167918, v116
	;; [unrolled: 1-line block ×4, first 2 shown]
	v_dual_fmac_f32 v104, 0x3e9e377a, v15 :: v_dual_fmac_f32 v105, 0x3e9e377a, v17
	v_dual_fmac_f32 v40, 0x3e9e377a, v17 :: v_dual_fmac_f32 v25, 0x3e9e377a, v26
	v_dual_fmac_f32 v16, 0x3e9e377a, v15 :: v_dual_fmac_f32 v109, 0x3e9e377a, v21
	v_dual_fmac_f32 v108, 0x3e9e377a, v18 :: v_dual_fmac_f32 v39, 0x3e9e377a, v21
	v_dual_fmac_f32 v20, 0x3e9e377a, v18 :: v_dual_fmac_f32 v111, 0x3e9e377a, v27
	v_dual_fmac_f32 v32, 0x3e9e377a, v27 :: v_dual_fmac_f32 v29, 0x3e9e377a, v30
	v_dual_fmac_f32 v112, 0x3e9e377a, v30 :: v_dual_fmac_f32 v31, 0x3e9e377a, v63
	v_lshl_add_u32 v41, v41, 2, 0
	v_dual_fmac_f32 v110, 0x3e9e377a, v26 :: v_dual_fmac_f32 v113, 0x3e9e377a, v63
	v_dual_fmac_f32 v57, 0x3e9e377a, v101 :: v_dual_fmac_f32 v10, 0x3e9e377a, v102
	v_fmac_f32_e32 v5, 0x3e9e377a, v101
	v_fmac_f32_e32 v9, 0x3e9e377a, v102
	ds_store_2addr_b32 v45, v103, v104 offset1:8
	ds_store_2addr_b32 v45, v105, v40 offset0:16 offset1:24
	ds_store_b32 v45, v16 offset:128
	ds_store_2addr_b32 v44, v13, v108 offset1:8
	ds_store_2addr_b32 v44, v109, v39 offset0:16 offset1:24
	ds_store_b32 v44, v20 offset:128
	ds_store_2addr_b32 v43, v14, v110 offset1:8
	ds_store_2addr_b32 v43, v111, v32 offset0:16 offset1:24
	ds_store_b32 v43, v25 offset:128
	ds_store_2addr_b32 v42, v19, v112 offset1:8
	ds_store_2addr_b32 v42, v113, v31 offset0:16 offset1:24
	ds_store_b32 v42, v29 offset:128
	ds_store_2addr_b32 v41, v22, v57 offset1:8
	ds_store_2addr_b32 v41, v9, v10 offset0:16 offset1:24
	ds_store_b32 v41, v5 offset:128
	global_wb scope:SCOPE_SE
	s_wait_dscnt 0x0
	s_barrier_signal -1
	s_barrier_wait -1
	global_inv scope:SCOPE_SE
	ds_load_2addr_b32 v[13:14], v0 offset1:200
	ds_load_2addr_b32 v[31:32], v37 offset0:144 offset1:200
	ds_load_2addr_b32 v[27:28], v38 offset1:88
	ds_load_2addr_b32 v[25:26], v11 offset0:32 offset1:88
	ds_load_2addr_b32 v[19:20], v11 offset0:144 offset1:232
	;; [unrolled: 1-line block ×3, first 2 shown]
	ds_load_2addr_b32 v[29:30], v37 offset1:56
	ds_load_2addr_b32 v[21:22], v38 offset0:144 offset1:200
	ds_load_2addr_b32 v[15:16], v7 offset0:32 offset1:88
	ds_load_b32 v61, v56
	ds_load_b32 v62, v54
	ds_load_b32 v63, v0 offset:5248
                                        ; implicit-def: $vgpr18
	s_and_saveexec_b32 s1, s0
	s_cbranch_execz .LBB0_37
; %bb.36:
	v_add_nc_u32_e32 v5, 0x500, v0
	v_add_nc_u32_e32 v6, 0xc00, v0
	;; [unrolled: 1-line block ×3, first 2 shown]
	ds_load_b32 v57, v58
	ds_load_2addr_b32 v[9:10], v5 offset0:48 offset1:248
	ds_load_2addr_b32 v[5:6], v6 offset1:200
	ds_load_2addr_b32 v[17:18], v7 offset0:16 offset1:216
.LBB0_37:
	s_wait_alu 0xfffe
	s_or_b32 exec_lo, exec_lo, s1
	v_dual_add_f32 v7, v92, v90 :: v_dual_sub_f32 v38, v99, v97
	v_add_f32_e32 v97, v91, v89
	v_sub_f32_e32 v37, v98, v100
	v_dual_sub_f32 v39, v91, v92 :: v_dual_sub_f32 v98, v90, v89
	s_delay_alu instid0(VALU_DEP_4)
	v_fma_f32 v40, -0.5, v7, v36
	v_add_f32_e32 v11, v36, v91
	v_dual_sub_f32 v91, v92, v91 :: v_dual_fmac_f32 v36, -0.5, v97
	v_sub_f32_e32 v7, v89, v90
	global_wb scope:SCOPE_SE
	s_wait_dscnt 0x0
	v_dual_add_f32 v11, v11, v92 :: v_dual_fmamk_f32 v92, v37, 0xbf737871, v40
	v_dual_fmac_f32 v40, 0x3f737871, v37 :: v_dual_add_f32 v7, v39, v7
	v_fmamk_f32 v39, v38, 0x3f737871, v36
	v_fmac_f32_e32 v36, 0xbf737871, v38
	s_delay_alu instid0(VALU_DEP_4) | instskip(SKIP_2) | instid1(VALU_DEP_4)
	v_fmac_f32_e32 v92, 0xbf167918, v38
	v_dual_add_f32 v11, v11, v90 :: v_dual_add_f32 v90, v82, v83
	v_fmac_f32_e32 v40, 0x3f167918, v38
	v_fmac_f32_e32 v36, 0x3f167918, v37
	s_delay_alu instid0(VALU_DEP_3)
	v_dual_fmac_f32 v92, 0x3e9e377a, v7 :: v_dual_add_f32 v89, v11, v89
	v_add_f32_e32 v11, v91, v98
	v_add_f32_e32 v91, v35, v81
	v_fma_f32 v90, -0.5, v90, v35
	v_fmac_f32_e32 v40, 0x3e9e377a, v7
	s_barrier_signal -1
	s_delay_alu instid0(VALU_DEP_3) | instskip(SKIP_3) | instid1(VALU_DEP_2)
	v_dual_fmac_f32 v36, 0x3e9e377a, v11 :: v_dual_add_f32 v7, v91, v82
	v_sub_f32_e32 v91, v94, v93
	v_dual_sub_f32 v95, v95, v96 :: v_dual_sub_f32 v94, v84, v83
	v_dual_fmac_f32 v39, 0xbf167918, v37 :: v_dual_add_f32 v96, v81, v84
	v_dual_sub_f32 v93, v81, v82 :: v_dual_fmamk_f32 v38, v95, 0xbf737871, v90
	s_barrier_wait -1
	global_inv scope:SCOPE_SE
	v_sub_f32_e32 v64, v64, v65
	v_dual_sub_f32 v65, v46, v49 :: v_dual_fmac_f32 v38, 0xbf167918, v91
	v_dual_fmac_f32 v90, 0x3f737871, v95 :: v_dual_fmac_f32 v35, -0.5, v96
	s_delay_alu instid0(VALU_DEP_1) | instskip(NEXT) | instid1(VALU_DEP_1)
	v_dual_add_f32 v37, v93, v94 :: v_dual_fmamk_f32 v94, v91, 0x3f737871, v35
	v_dual_fmac_f32 v39, 0x3e9e377a, v11 :: v_dual_fmac_f32 v38, 0x3e9e377a, v37
	s_delay_alu instid0(VALU_DEP_2) | instskip(NEXT) | instid1(VALU_DEP_4)
	v_fmac_f32_e32 v94, 0xbf167918, v95
	v_fmac_f32_e32 v90, 0x3f167918, v91
	v_add_f32_e32 v7, v7, v83
	v_sub_f32_e32 v11, v83, v84
	v_fmac_f32_e32 v35, 0xbf737871, v91
	s_delay_alu instid0(VALU_DEP_4) | instskip(NEXT) | instid1(VALU_DEP_4)
	v_dual_add_f32 v83, v73, v76 :: v_dual_fmac_f32 v90, 0x3e9e377a, v37
	v_add_f32_e32 v93, v7, v84
	v_sub_f32_e32 v7, v82, v81
	v_dual_add_f32 v81, v34, v73 :: v_dual_sub_f32 v84, v85, v86
	v_add_f32_e32 v82, v74, v75
	v_sub_f32_e32 v86, v76, v75
	s_delay_alu instid0(VALU_DEP_4) | instskip(NEXT) | instid1(VALU_DEP_4)
	v_add_f32_e32 v7, v7, v11
	v_add_f32_e32 v11, v81, v74
	v_sub_f32_e32 v85, v73, v74
	v_fma_f32 v81, -0.5, v82, v34
	v_sub_f32_e32 v82, v87, v88
	v_fmac_f32_e32 v34, -0.5, v83
	v_add_f32_e32 v11, v11, v75
	v_fmac_f32_e32 v94, 0x3e9e377a, v7
	s_delay_alu instid0(VALU_DEP_4) | instskip(SKIP_1) | instid1(VALU_DEP_4)
	v_fmamk_f32 v37, v82, 0xbf737871, v81
	v_fmac_f32_e32 v81, 0x3f737871, v82
	v_add_f32_e32 v83, v11, v76
	v_sub_f32_e32 v11, v74, v73
	v_sub_f32_e32 v73, v75, v76
	v_dual_add_f32 v74, v51, v52 :: v_dual_fmac_f32 v35, 0x3f167918, v95
	v_dual_sub_f32 v76, v77, v78 :: v_dual_sub_f32 v77, v50, v51
	v_sub_f32_e32 v78, v59, v52
	s_delay_alu instid0(VALU_DEP_4)
	v_add_f32_e32 v11, v11, v73
	v_fmac_f32_e32 v37, 0xbf167918, v84
	v_add_f32_e32 v73, v33, v50
	v_sub_f32_e32 v75, v79, v80
	v_add_f32_e32 v77, v77, v78
	v_fmac_f32_e32 v35, 0x3e9e377a, v7
	v_add_f32_e32 v7, v85, v86
	v_fmamk_f32 v85, v84, 0x3f737871, v34
	v_dual_fmac_f32 v34, 0xbf737871, v84 :: v_dual_add_f32 v79, v50, v59
	v_fma_f32 v74, -0.5, v74, v33
	s_delay_alu instid0(VALU_DEP_4) | instskip(NEXT) | instid1(VALU_DEP_4)
	v_fmac_f32_e32 v37, 0x3e9e377a, v7
	v_fmac_f32_e32 v85, 0xbf167918, v82
	s_delay_alu instid0(VALU_DEP_4) | instskip(NEXT) | instid1(VALU_DEP_2)
	v_dual_fmac_f32 v34, 0x3f167918, v82 :: v_dual_fmac_f32 v33, -0.5, v79
	v_fmac_f32_e32 v85, 0x3e9e377a, v11
	s_delay_alu instid0(VALU_DEP_2) | instskip(SKIP_1) | instid1(VALU_DEP_1)
	v_dual_fmac_f32 v34, 0x3e9e377a, v11 :: v_dual_sub_f32 v11, v51, v50
	v_dual_sub_f32 v50, v52, v59 :: v_dual_fmac_f32 v81, 0x3f167918, v84
	v_add_f32_e32 v11, v11, v50
	s_delay_alu instid0(VALU_DEP_2) | instskip(SKIP_2) | instid1(VALU_DEP_2)
	v_fmac_f32_e32 v81, 0x3e9e377a, v7
	v_add_f32_e32 v7, v73, v51
	v_add_f32_e32 v51, v12, v47
	v_add_f32_e32 v7, v7, v52
	s_delay_alu instid0(VALU_DEP_2) | instskip(SKIP_1) | instid1(VALU_DEP_3)
	v_add_f32_e32 v50, v51, v48
	v_dual_add_f32 v51, v47, v46 :: v_dual_sub_f32 v52, v66, v67
	v_dual_add_f32 v78, v7, v59 :: v_dual_add_f32 v7, v48, v49
	s_delay_alu instid0(VALU_DEP_3) | instskip(NEXT) | instid1(VALU_DEP_2)
	v_add_f32_e32 v50, v50, v49
	v_fma_f32 v7, -0.5, v7, v12
	s_delay_alu instid0(VALU_DEP_4) | instskip(SKIP_1) | instid1(VALU_DEP_4)
	v_dual_fmac_f32 v12, -0.5, v51 :: v_dual_sub_f32 v51, v47, v48
	v_dual_sub_f32 v47, v48, v47 :: v_dual_sub_f32 v48, v49, v46
	v_dual_add_f32 v46, v50, v46 :: v_dual_fmamk_f32 v73, v75, 0xbf737871, v74
	v_fmac_f32_e32 v74, 0x3f737871, v75
	v_fmamk_f32 v59, v52, 0xbf737871, v7
	v_fmac_f32_e32 v7, 0x3f737871, v52
	v_add_f32_e32 v49, v51, v65
	v_fmac_f32_e32 v73, 0xbf167918, v76
	v_fmac_f32_e32 v74, 0x3f167918, v76
	;; [unrolled: 1-line block ×4, first 2 shown]
	v_add_f32_e32 v47, v47, v48
	v_fmac_f32_e32 v73, 0x3e9e377a, v77
	v_fmac_f32_e32 v74, 0x3e9e377a, v77
	v_fmamk_f32 v77, v76, 0x3f737871, v33
	v_fmac_f32_e32 v33, 0xbf737871, v76
	v_fmac_f32_e32 v59, 0x3e9e377a, v49
	;; [unrolled: 1-line block ×3, first 2 shown]
	s_delay_alu instid0(VALU_DEP_4) | instskip(NEXT) | instid1(VALU_DEP_4)
	v_fmac_f32_e32 v77, 0xbf167918, v75
	v_fmac_f32_e32 v33, 0x3f167918, v75
	s_delay_alu instid0(VALU_DEP_2) | instskip(NEXT) | instid1(VALU_DEP_2)
	v_fmac_f32_e32 v77, 0x3e9e377a, v11
	v_fmac_f32_e32 v33, 0x3e9e377a, v11
	v_fmamk_f32 v11, v64, 0x3f737871, v12
	v_fmac_f32_e32 v12, 0xbf737871, v64
	s_delay_alu instid0(VALU_DEP_2) | instskip(NEXT) | instid1(VALU_DEP_2)
	v_fmac_f32_e32 v11, 0xbf167918, v52
	v_fmac_f32_e32 v12, 0x3f167918, v52
	s_delay_alu instid0(VALU_DEP_2) | instskip(NEXT) | instid1(VALU_DEP_2)
	v_fmac_f32_e32 v11, 0x3e9e377a, v47
	v_fmac_f32_e32 v12, 0x3e9e377a, v47
	ds_store_2addr_b32 v45, v89, v92 offset1:8
	ds_store_2addr_b32 v45, v39, v36 offset0:16 offset1:24
	ds_store_b32 v45, v40 offset:128
	ds_store_2addr_b32 v44, v93, v38 offset1:8
	ds_store_2addr_b32 v44, v94, v35 offset0:16 offset1:24
	ds_store_b32 v44, v90 offset:128
	;; [unrolled: 3-line block ×5, first 2 shown]
	v_add_nc_u32_e32 v35, 0x400, v0
	v_add_nc_u32_e32 v36, 0x800, v0
	;; [unrolled: 1-line block ×4, first 2 shown]
	global_wb scope:SCOPE_SE
	s_wait_dscnt 0x0
	s_barrier_signal -1
	s_barrier_wait -1
	global_inv scope:SCOPE_SE
	ds_load_2addr_b32 v[33:34], v0 offset1:200
	ds_load_2addr_b32 v[51:52], v35 offset0:144 offset1:200
	ds_load_2addr_b32 v[47:48], v36 offset1:88
	ds_load_2addr_b32 v[45:46], v37 offset0:32 offset1:88
	ds_load_2addr_b32 v[39:40], v37 offset0:144 offset1:232
	;; [unrolled: 1-line block ×3, first 2 shown]
	ds_load_2addr_b32 v[49:50], v35 offset1:56
	ds_load_2addr_b32 v[41:42], v36 offset0:144 offset1:200
	ds_load_2addr_b32 v[35:36], v38 offset0:32 offset1:88
	ds_load_b32 v64, v56
	ds_load_b32 v65, v54
	ds_load_b32 v67, v0 offset:5248
                                        ; implicit-def: $vgpr38
	s_and_saveexec_b32 s1, s0
	s_cbranch_execz .LBB0_39
; %bb.38:
	v_add_nc_u32_e32 v11, 0x500, v0
	v_add_nc_u32_e32 v38, 0x1200, v0
	ds_load_b32 v59, v58
	ds_load_2addr_b32 v[7:8], v37 offset1:200
	ds_load_2addr_b32 v[11:12], v11 offset0:48 offset1:248
	ds_load_2addr_b32 v[37:38], v38 offset0:16 offset1:216
.LBB0_39:
	s_wait_alu 0xfffe
	s_or_b32 exec_lo, exec_lo, s1
	v_subrev_nc_u32_e32 v66, 40, v68
	v_cmp_gt_u32_e64 s1, 40, v68
	v_dual_mov_b32 v74, 0 :: v_dual_and_b32 v75, 0xff, v69
	s_wait_alu 0xf1ff
	s_delay_alu instid0(VALU_DEP_2) | instskip(NEXT) | instid1(VALU_DEP_2)
	v_cndmask_b32_e64 v66, v66, v68, s1
	v_mul_lo_u16 v75, 0xcd, v75
	s_delay_alu instid0(VALU_DEP_2) | instskip(NEXT) | instid1(VALU_DEP_2)
	v_mul_i32_i24_e32 v73, 6, v66
	v_lshrrev_b16 v75, 13, v75
	s_delay_alu instid0(VALU_DEP_2) | instskip(NEXT) | instid1(VALU_DEP_2)
	v_lshlrev_b64_e32 v[73:74], 3, v[73:74]
	v_mul_lo_u16 v77, v75, 40
	s_delay_alu instid0(VALU_DEP_2) | instskip(SKIP_1) | instid1(VALU_DEP_3)
	v_add_co_u32 v73, s1, s8, v73
	s_wait_alu 0xf1ff
	v_add_co_ci_u32_e64 v74, s1, s9, v74, s1
	v_cmp_lt_u32_e64 s1, 39, v68
	s_clause 0x2
	global_load_b128 v[81:84], v[73:74], off offset:304
	global_load_b128 v[86:89], v[73:74], off offset:320
	;; [unrolled: 1-line block ×3, first 2 shown]
	v_and_b32_e32 v76, 0xff, v70
	v_sub_nc_u16 v74, v69, v77
	v_and_b32_e32 v77, 0xff, v71
	v_lshlrev_b32_e32 v66, 2, v66
	s_delay_alu instid0(VALU_DEP_3)
	v_and_b32_e32 v74, 0xff, v74
	s_wait_loadcnt_dscnt 0x109
	v_dual_mul_f32 v130, v51, v84 :: v_dual_mul_f32 v131, v48, v87
	v_mul_lo_u16 v76, 0xcd, v76
	v_mul_lo_u16 v77, 0xcd, v77
	s_wait_loadcnt 0x0
	v_dual_mul_f32 v85, v34, v82 :: v_dual_mul_f32 v80, v20, v91
	s_delay_alu instid0(VALU_DEP_3) | instskip(NEXT) | instid1(VALU_DEP_3)
	v_lshrrev_b16 v76, 13, v76
	v_lshrrev_b16 v77, 13, v77
	s_delay_alu instid0(VALU_DEP_2) | instskip(NEXT) | instid1(VALU_DEP_2)
	v_mul_lo_u16 v73, v76, 40
	v_mul_lo_u16 v77, v77, 40
	v_and_b32_e32 v76, 0xffff, v76
	s_delay_alu instid0(VALU_DEP_3) | instskip(NEXT) | instid1(VALU_DEP_3)
	v_sub_nc_u16 v73, v70, v73
	v_sub_nc_u16 v77, v71, v77
	s_delay_alu instid0(VALU_DEP_3) | instskip(NEXT) | instid1(VALU_DEP_3)
	v_mul_u32_u24_e32 v76, 0x460, v76
	v_and_b32_e32 v73, 0xff, v73
	s_delay_alu instid0(VALU_DEP_3) | instskip(NEXT) | instid1(VALU_DEP_2)
	v_and_b32_e32 v77, 0xff, v77
	v_mul_u32_u24_e32 v79, 6, v73
	v_lshlrev_b32_e32 v73, 2, v73
	s_delay_alu instid0(VALU_DEP_2) | instskip(NEXT) | instid1(VALU_DEP_2)
	v_lshlrev_b32_e32 v79, 3, v79
	v_add3_u32 v73, 0, v76, v73
	s_wait_dscnt 0x8
	v_dual_mul_f32 v76, v28, v87 :: v_dual_mul_f32 v87, v45, v89
	v_mul_u32_u24_e32 v78, 6, v74
	v_and_b32_e32 v75, 0xffff, v75
	v_lshlrev_b32_e32 v74, 2, v74
	s_delay_alu instid0(VALU_DEP_4) | instskip(NEXT) | instid1(VALU_DEP_4)
	v_fmac_f32_e32 v76, v48, v86
	v_lshlrev_b32_e32 v78, 3, v78
	s_clause 0x4
	global_load_b128 v[94:97], v78, s[8:9] offset:304
	global_load_b128 v[98:101], v78, s[8:9] offset:320
	;; [unrolled: 1-line block ×5, first 2 shown]
	v_mul_u32_u24_e32 v78, 6, v77
	s_delay_alu instid0(VALU_DEP_1)
	v_lshlrev_b32_e32 v78, 3, v78
	s_clause 0x3
	global_load_b128 v[114:117], v79, s[8:9] offset:336
	global_load_b128 v[118:121], v78, s[8:9] offset:304
	global_load_b128 v[122:125], v78, s[8:9] offset:320
	global_load_b128 v[126:129], v78, s[8:9] offset:336
	s_wait_alu 0xf1ff
	v_cndmask_b32_e64 v78, 0, 0x460, s1
	v_mul_u32_u24_e32 v79, 0x460, v75
	global_wb scope:SCOPE_SE
	s_wait_loadcnt_dscnt 0x0
	s_barrier_signal -1
	s_barrier_wait -1
	global_inv scope:SCOPE_SE
	v_add3_u32 v74, 0, v79, v74
	v_mul_f32_e32 v79, v25, v89
	v_mul_f32_e32 v89, v40, v91
	;; [unrolled: 1-line block ×3, first 2 shown]
	v_add3_u32 v75, 0, v78, v66
	v_lshl_add_u32 v66, v77, 2, 0
	v_dual_mul_f32 v78, v31, v84 :: v_dual_mul_f32 v77, v14, v82
	v_mul_f32_e32 v84, v23, v93
	v_fma_f32 v82, v14, v81, -v85
	v_dual_fmac_f32 v80, v40, v90 :: v_dual_fmac_f32 v79, v45, v88
	s_delay_alu instid0(VALU_DEP_4)
	v_dual_fmac_f32 v78, v51, v83 :: v_dual_fmac_f32 v77, v34, v81
	v_fma_f32 v81, v31, v83, -v130
	v_fma_f32 v51, v28, v86, -v131
	;; [unrolled: 1-line block ×4, first 2 shown]
	v_fmac_f32_e32 v84, v43, v92
	v_fma_f32 v86, v20, v90, -v89
	v_sub_f32_e32 v135, v79, v76
	v_dual_add_f32 v134, v51, v83 :: v_dual_sub_f32 v133, v78, v80
	s_delay_alu instid0(VALU_DEP_3)
	v_add_f32_e32 v132, v81, v86
	v_mul_f32_e32 v88, v21, v99
	v_mul_f32_e32 v34, v52, v97
	;; [unrolled: 1-line block ×3, first 2 shown]
	v_dual_mul_f32 v43, v49, v95 :: v_dual_mul_f32 v90, v26, v101
	v_dual_mul_f32 v85, v29, v95 :: v_dual_mul_f32 v20, v27, v105
	;; [unrolled: 1-line block ×4, first 2 shown]
	v_mul_f32_e32 v99, v46, v101
	v_mul_f32_e32 v91, v15, v107
	v_dual_add_f32 v130, v82, v87 :: v_dual_sub_f32 v131, v77, v84
	v_dual_mul_f32 v14, v30, v103 :: v_dual_mul_f32 v101, v47, v105
	v_mul_f32_e32 v105, v44, v109
	v_mul_f32_e32 v103, v35, v107
	v_mul_f32_e32 v107, v42, v111
	v_mul_f32_e32 v23, v22, v111
	v_dual_mul_f32 v109, v39, v113 :: v_dual_mul_f32 v48, v16, v115
	v_dual_mul_f32 v111, v36, v115 :: v_dual_fmac_f32 v14, v50, v102
	v_dual_mul_f32 v113, v67, v117 :: v_dual_mul_f32 v40, v5, v123
	v_mul_f32_e32 v89, v63, v117
	v_dual_mul_f32 v115, v11, v119 :: v_dual_fmac_f32 v90, v46, v100
	v_dual_mul_f32 v31, v9, v119 :: v_dual_fmac_f32 v20, v47, v104
	v_fma_f32 v93, v32, v96, -v34
	v_dual_mul_f32 v34, v10, v121 :: v_dual_fmac_f32 v25, v52, v96
	v_fmac_f32_e32 v88, v41, v98
	v_fma_f32 v52, v29, v94, -v43
	s_delay_alu instid0(VALU_DEP_3)
	v_dual_mul_f32 v45, v17, v127 :: v_dual_fmac_f32 v34, v12, v120
	v_fma_f32 v29, v30, v102, -v97
	v_dual_mul_f32 v97, v38, v129 :: v_dual_fmac_f32 v40, v7, v122
	v_mul_f32_e32 v30, v18, v129
	v_fma_f32 v47, v26, v100, -v99
	v_fma_f32 v46, v21, v98, -v95
	v_fmac_f32_e32 v91, v35, v106
	v_dual_mul_f32 v117, v12, v121 :: v_dual_mul_f32 v96, v7, v123
	v_dual_fmac_f32 v85, v49, v94 :: v_dual_fmac_f32 v92, v44, v108
	v_dual_mul_f32 v49, v8, v125 :: v_dual_fmac_f32 v28, v39, v112
	v_dual_mul_f32 v43, v6, v125 :: v_dual_fmac_f32 v48, v36, v114
	v_mul_f32_e32 v94, v37, v127
	v_add_f32_e32 v50, v132, v130
	v_sub_f32_e32 v102, v132, v130
	v_fma_f32 v32, v27, v104, -v101
	v_dual_add_f32 v101, v135, v133 :: v_dual_fmac_f32 v30, v38, v128
	v_sub_f32_e32 v119, v130, v134
	v_dual_sub_f32 v127, v133, v131 :: v_dual_sub_f32 v38, v90, v88
	v_fma_f32 v41, v24, v108, -v105
	v_fma_f32 v24, v15, v106, -v103
	;; [unrolled: 1-line block ×5, first 2 shown]
	v_fmac_f32_e32 v89, v67, v116
	v_fmac_f32_e32 v45, v37, v126
	v_fma_f32 v37, v18, v128, -v97
	v_add_f32_e32 v22, v46, v47
	v_dual_fmac_f32 v23, v42, v110 :: v_dual_sub_f32 v18, v25, v91
	v_sub_f32_e32 v121, v134, v132
	v_dual_sub_f32 v123, v135, v133 :: v_dual_sub_f32 v12, v85, v92
	v_fma_f32 v19, v19, v112, -v109
	v_fma_f32 v26, v10, v120, -v117
	;; [unrolled: 1-line block ×4, first 2 shown]
	v_add_f32_e32 v6, v101, v131
	v_dual_mul_f32 v7, 0x3f4a47b2, v119 :: v_dual_add_f32 v98, v38, v18
	v_dual_mul_f32 v10, 0x3f5ff5aa, v127 :: v_dual_add_f32 v5, v134, v50
	v_dual_add_f32 v42, v29, v21 :: v_dual_fmac_f32 v31, v11, v118
	v_sub_f32_e32 v44, v14, v89
	v_sub_f32_e32 v50, v20, v48
	;; [unrolled: 1-line block ×3, first 2 shown]
	v_add_f32_e32 v49, v32, v16
	v_sub_f32_e32 v125, v131, v135
	v_fma_f32 v27, v9, v118, -v115
	v_fma_f32 v39, v17, v126, -v94
	v_mul_f32_e32 v9, 0xbf08b237, v123
	v_add_f32_e32 v11, v52, v41
	v_dual_add_f32 v63, v15, v19 :: v_dual_add_f32 v100, v49, v42
	v_add_f32_e32 v17, v93, v24
	v_fmamk_f32 v94, v121, 0x3d64c772, v7
	s_delay_alu instid0(VALU_DEP_3)
	v_dual_sub_f32 v101, v49, v42 :: v_dual_sub_f32 v42, v42, v63
	v_sub_f32_e32 v103, v67, v50
	v_sub_f32_e32 v99, v38, v18
	;; [unrolled: 1-line block ×4, first 2 shown]
	v_dual_fmac_f32 v43, v8, v124 :: v_dual_add_f32 v96, v17, v11
	v_mul_f32_e32 v8, 0x3d64c772, v121
	v_fmamk_f32 v95, v125, 0x3eae86e6, v9
	v_fma_f32 v10, 0xbeae86e6, v125, -v10
	v_add_f32_e32 v13, v13, v5
	v_fma_f32 v9, 0x3f5ff5aa, v127, -v9
	v_fma_f32 v8, 0x3f3bfb3b, v102, -v8
	v_fmac_f32_e32 v95, 0x3ee1c552, v6
	v_fmac_f32_e32 v10, 0x3ee1c552, v6
	v_fmamk_f32 v5, v5, 0xbf955555, v13
	v_fma_f32 v7, 0xbf3bfb3b, v102, -v7
	v_dual_sub_f32 v97, v17, v11 :: v_dual_add_f32 v12, v98, v12
	v_add_f32_e32 v102, v67, v50
	v_dual_sub_f32 v49, v63, v49 :: v_dual_mul_f32 v98, 0x3f5ff5aa, v18
	v_dual_sub_f32 v50, v50, v44 :: v_dual_fmac_f32 v9, 0x3ee1c552, v6
	v_add_f32_e32 v6, v22, v96
	v_dual_add_f32 v63, v63, v100 :: v_dual_add_f32 v94, v94, v5
	v_dual_mul_f32 v100, 0xbf08b237, v103 :: v_dual_sub_f32 v17, v22, v17
	v_dual_mul_f32 v96, 0xbf08b237, v99 :: v_dual_sub_f32 v11, v11, v22
	v_add_f32_e32 v8, v8, v5
	v_add_f32_e32 v5, v7, v5
	s_delay_alu instid0(VALU_DEP_4) | instskip(NEXT) | instid1(VALU_DEP_4)
	v_mul_f32_e32 v22, 0x3d64c772, v17
	v_fma_f32 v18, 0x3f5ff5aa, v18, -v96
	v_add_f32_e32 v7, v62, v6
	v_dual_fmamk_f32 v62, v38, 0x3eae86e6, v96 :: v_dual_sub_f32 v67, v44, v67
	v_mul_f32_e32 v42, 0x3f4a47b2, v42
	v_add_f32_e32 v44, v102, v44
	v_mul_f32_e32 v102, 0x3f5ff5aa, v50
	s_delay_alu instid0(VALU_DEP_4)
	v_fmac_f32_e32 v62, 0x3ee1c552, v12
	v_mul_f32_e32 v11, 0x3f4a47b2, v11
	v_mul_f32_e32 v99, 0x3d64c772, v49
	v_fma_f32 v22, 0x3f3bfb3b, v97, -v22
	v_fma_f32 v38, 0xbeae86e6, v38, -v98
	;; [unrolled: 1-line block ×3, first 2 shown]
	v_add_f32_e32 v98, v95, v94
	v_dual_fmac_f32 v18, 0x3ee1c552, v12 :: v_dual_add_f32 v61, v61, v63
	v_fmamk_f32 v6, v6, 0xbf955555, v7
	v_fmamk_f32 v17, v17, 0x3d64c772, v11
	v_fma_f32 v11, 0xbf3bfb3b, v97, -v11
	v_fmamk_f32 v49, v49, 0x3d64c772, v42
	v_fma_f32 v42, 0xbf3bfb3b, v101, -v42
	v_dual_fmamk_f32 v97, v67, 0x3eae86e6, v100 :: v_dual_sub_f32 v100, v8, v9
	v_add_f32_e32 v8, v9, v8
	v_fma_f32 v96, 0x3f3bfb3b, v101, -v99
	v_dual_add_f32 v99, v10, v5 :: v_dual_fmac_f32 v38, 0x3ee1c552, v12
	v_dual_sub_f32 v5, v5, v10 :: v_dual_fmamk_f32 v10, v63, 0xbf955555, v61
	v_dual_sub_f32 v9, v94, v95 :: v_dual_fmac_f32 v50, 0x3ee1c552, v44
	v_fma_f32 v67, 0xbeae86e6, v67, -v102
	ds_store_2addr_b32 v75, v13, v98 offset1:40
	ds_store_2addr_b32 v75, v99, v100 offset0:80 offset1:120
	ds_store_2addr_b32 v75, v8, v5 offset0:160 offset1:200
	ds_store_b32 v75, v9 offset:960
	v_add_f32_e32 v8, v22, v6
	v_add_f32_e32 v5, v17, v6
	v_dual_add_f32 v6, v11, v6 :: v_dual_fmac_f32 v67, 0x3ee1c552, v44
	s_delay_alu instid0(VALU_DEP_3) | instskip(NEXT) | instid1(VALU_DEP_2)
	v_dual_sub_f32 v17, v8, v18 :: v_dual_add_f32 v8, v18, v8
	v_add_f32_e32 v13, v38, v6
	v_sub_f32_e32 v6, v6, v38
	v_add_f32_e32 v9, v49, v10
	v_add_f32_e32 v11, v96, v10
	v_dual_add_f32 v10, v42, v10 :: v_dual_fmac_f32 v97, 0x3ee1c552, v44
	v_dual_add_f32 v12, v62, v5 :: v_dual_sub_f32 v5, v5, v62
	s_delay_alu instid0(VALU_DEP_2) | instskip(SKIP_1) | instid1(VALU_DEP_4)
	v_add_f32_e32 v22, v67, v10
	v_sub_f32_e32 v10, v10, v67
	v_add_f32_e32 v18, v97, v9
	v_dual_sub_f32 v38, v11, v50 :: v_dual_sub_f32 v9, v9, v97
	v_add_f32_e32 v11, v50, v11
	ds_store_2addr_b32 v74, v7, v12 offset1:40
	ds_store_2addr_b32 v74, v13, v17 offset0:80 offset1:120
	ds_store_2addr_b32 v74, v8, v6 offset0:160 offset1:200
	ds_store_b32 v74, v5 offset:960
	ds_store_2addr_b32 v73, v61, v18 offset1:40
	ds_store_2addr_b32 v73, v22, v38 offset0:80 offset1:120
	ds_store_2addr_b32 v73, v11, v10 offset0:160 offset1:200
	ds_store_b32 v73, v9 offset:960
	s_and_saveexec_b32 s1, s0
	s_cbranch_execz .LBB0_41
; %bb.40:
	v_dual_add_f32 v6, v35, v36 :: v_dual_add_f32 v7, v26, v39
	v_add_f32_e32 v5, v27, v37
	v_dual_sub_f32 v8, v43, v40 :: v_dual_sub_f32 v11, v34, v45
	s_delay_alu instid0(VALU_DEP_3) | instskip(NEXT) | instid1(VALU_DEP_3)
	v_dual_sub_f32 v12, v31, v30 :: v_dual_sub_f32 v13, v6, v7
	v_dual_sub_f32 v9, v5, v6 :: v_dual_add_f32 v10, v7, v5
	s_delay_alu instid0(VALU_DEP_2) | instskip(NEXT) | instid1(VALU_DEP_2)
	v_dual_sub_f32 v17, v11, v12 :: v_dual_mul_f32 v18, 0x3d64c772, v13
	v_dual_mul_f32 v9, 0x3f4a47b2, v9 :: v_dual_add_f32 v6, v6, v10
	v_sub_f32_e32 v10, v8, v11
	v_sub_f32_e32 v38, v12, v8
	s_delay_alu instid0(VALU_DEP_3) | instskip(NEXT) | instid1(VALU_DEP_4)
	v_dual_add_f32 v8, v8, v11 :: v_dual_fmamk_f32 v13, v13, 0x3d64c772, v9
	v_dual_add_f32 v22, v57, v6 :: v_dual_sub_f32 v5, v7, v5
	v_mul_f32_e32 v7, 0x3f5ff5aa, v17
	s_delay_alu instid0(VALU_DEP_2) | instskip(NEXT) | instid1(VALU_DEP_4)
	v_fma_f32 v9, 0xbf3bfb3b, v5, -v9
	v_add_f32_e32 v8, v8, v12
	s_delay_alu instid0(VALU_DEP_3) | instskip(SKIP_1) | instid1(VALU_DEP_2)
	v_fma_f32 v7, 0xbeae86e6, v38, -v7
	v_fma_f32 v5, 0x3f3bfb3b, v5, -v18
	v_fmac_f32_e32 v7, 0x3ee1c552, v8
	v_fmamk_f32 v6, v6, 0xbf955555, v22
	s_delay_alu instid0(VALU_DEP_1) | instskip(NEXT) | instid1(VALU_DEP_4)
	v_add_f32_e32 v9, v9, v6
	v_add_f32_e32 v5, v5, v6
	v_mul_f32_e32 v10, 0xbf08b237, v10
	s_delay_alu instid0(VALU_DEP_1) | instskip(NEXT) | instid1(VALU_DEP_1)
	v_fma_f32 v11, 0x3f5ff5aa, v17, -v10
	v_fmac_f32_e32 v11, 0x3ee1c552, v8
	s_delay_alu instid0(VALU_DEP_1) | instskip(SKIP_1) | instid1(VALU_DEP_1)
	v_dual_add_f32 v12, v11, v5 :: v_dual_sub_f32 v5, v5, v11
	v_fmamk_f32 v10, v38, 0x3eae86e6, v10
	v_fmac_f32_e32 v10, 0x3ee1c552, v8
	v_dual_sub_f32 v8, v9, v7 :: v_dual_add_f32 v7, v7, v9
	v_add_f32_e32 v6, v13, v6
	v_add_nc_u32_e32 v13, 0x1000, v66
	v_add_nc_u32_e32 v9, 0x1400, v66
	s_delay_alu instid0(VALU_DEP_3)
	v_add_f32_e32 v11, v10, v6
	v_sub_f32_e32 v6, v6, v10
	ds_store_2addr_b32 v13, v22, v11 offset0:96 offset1:136
	ds_store_2addr_b32 v13, v7, v5 offset0:176 offset1:216
	ds_store_2addr_b32 v9, v12, v8 offset1:40
	ds_store_b32 v66, v6 offset:5440
.LBB0_41:
	s_wait_alu 0xfffe
	s_or_b32 exec_lo, exec_lo, s1
	v_dual_add_f32 v5, v77, v84 :: v_dual_add_f32 v8, v76, v79
	v_dual_add_f32 v6, v78, v80 :: v_dual_sub_f32 v9, v81, v86
	v_sub_f32_e32 v10, v83, v51
	v_sub_f32_e32 v7, v82, v87
	global_wb scope:SCOPE_SE
	s_wait_dscnt 0x0
	v_add_f32_e32 v11, v6, v5
	v_dual_sub_f32 v12, v6, v5 :: v_dual_sub_f32 v5, v5, v8
	v_dual_sub_f32 v6, v8, v6 :: v_dual_add_f32 v13, v10, v9
	s_delay_alu instid0(VALU_DEP_3) | instskip(NEXT) | instid1(VALU_DEP_3)
	v_dual_add_f32 v8, v8, v11 :: v_dual_sub_f32 v11, v10, v9
	v_dual_sub_f32 v10, v7, v10 :: v_dual_mul_f32 v5, 0x3f4a47b2, v5
	s_barrier_signal -1
	s_delay_alu instid0(VALU_DEP_2)
	v_add_f32_e32 v38, v33, v8
	v_sub_f32_e32 v9, v9, v7
	v_add_f32_e32 v7, v13, v7
	s_barrier_wait -1
	global_inv scope:SCOPE_SE
	v_fmamk_f32 v8, v8, 0xbf955555, v38
	v_dual_mul_f32 v13, 0x3d64c772, v6 :: v_dual_fmamk_f32 v6, v6, 0x3d64c772, v5
	v_fma_f32 v5, 0xbf3bfb3b, v12, -v5
	s_delay_alu instid0(VALU_DEP_2) | instskip(NEXT) | instid1(VALU_DEP_3)
	v_dual_add_f32 v6, v6, v8 :: v_dual_mul_f32 v11, 0xbf08b237, v11
	v_fma_f32 v13, 0x3f3bfb3b, v12, -v13
	s_delay_alu instid0(VALU_DEP_2) | instskip(NEXT) | instid1(VALU_DEP_1)
	v_dual_fmamk_f32 v12, v10, 0x3eae86e6, v11 :: v_dual_add_f32 v5, v5, v8
	v_fmac_f32_e32 v12, 0x3ee1c552, v7
	s_delay_alu instid0(VALU_DEP_1) | instskip(SKIP_1) | instid1(VALU_DEP_2)
	v_dual_mul_f32 v17, 0x3f5ff5aa, v9 :: v_dual_sub_f32 v42, v6, v12
	v_fma_f32 v9, 0x3f5ff5aa, v9, -v11
	v_fma_f32 v10, 0xbeae86e6, v10, -v17
	v_add_f32_e32 v11, v13, v8
	v_add_f32_e32 v8, v25, v91
	s_delay_alu instid0(VALU_DEP_4) | instskip(NEXT) | instid1(VALU_DEP_4)
	v_fmac_f32_e32 v9, 0x3ee1c552, v7
	v_dual_fmac_f32 v10, 0x3ee1c552, v7 :: v_dual_add_f32 v7, v85, v92
	s_delay_alu instid0(VALU_DEP_2) | instskip(SKIP_1) | instid1(VALU_DEP_3)
	v_dual_add_f32 v49, v9, v11 :: v_dual_sub_f32 v50, v11, v9
	v_sub_f32_e32 v9, v52, v41
	v_dual_sub_f32 v13, v93, v24 :: v_dual_add_f32 v18, v8, v7
	v_dual_sub_f32 v17, v47, v46 :: v_dual_sub_f32 v22, v8, v7
	v_dual_add_f32 v11, v88, v90 :: v_dual_add_f32 v46, v10, v5
	s_delay_alu instid0(VALU_DEP_2) | instskip(NEXT) | instid1(VALU_DEP_2)
	v_dual_add_f32 v47, v12, v6 :: v_dual_add_f32 v24, v17, v13
	v_dual_sub_f32 v44, v5, v10 :: v_dual_sub_f32 v7, v7, v11
	v_sub_f32_e32 v8, v11, v8
	v_dual_add_f32 v11, v11, v18 :: v_dual_sub_f32 v18, v17, v13
	v_sub_f32_e32 v17, v9, v17
	s_delay_alu instid0(VALU_DEP_4) | instskip(SKIP_1) | instid1(VALU_DEP_4)
	v_mul_f32_e32 v7, 0x3f4a47b2, v7
	v_dual_sub_f32 v13, v13, v9 :: v_dual_add_f32 v6, v20, v48
	v_dual_mul_f32 v18, 0xbf08b237, v18 :: v_dual_add_f32 v9, v24, v9
	v_mul_f32_e32 v24, 0x3d64c772, v8
	s_delay_alu instid0(VALU_DEP_4) | instskip(SKIP_2) | instid1(VALU_DEP_4)
	v_fmamk_f32 v8, v8, 0x3d64c772, v7
	v_fma_f32 v7, 0xbf3bfb3b, v22, -v7
	v_dual_add_f32 v5, v14, v89 :: v_dual_add_f32 v10, v23, v28
	v_fma_f32 v24, 0x3f3bfb3b, v22, -v24
	v_fmamk_f32 v22, v17, 0x3eae86e6, v18
	v_add_f32_e32 v41, v65, v11
	v_sub_f32_e32 v12, v19, v15
	v_sub_f32_e32 v14, v6, v5
	s_delay_alu instid0(VALU_DEP_4) | instskip(NEXT) | instid1(VALU_DEP_4)
	v_fmac_f32_e32 v22, 0x3ee1c552, v9
	v_fmamk_f32 v11, v11, 0xbf955555, v41
	v_mul_f32_e32 v25, 0x3f5ff5aa, v13
	v_fma_f32 v13, 0x3f5ff5aa, v13, -v18
	s_delay_alu instid0(VALU_DEP_3) | instskip(NEXT) | instid1(VALU_DEP_3)
	v_add_f32_e32 v8, v8, v11
	v_fma_f32 v17, 0xbeae86e6, v17, -v25
	s_delay_alu instid0(VALU_DEP_3) | instskip(SKIP_1) | instid1(VALU_DEP_4)
	v_dual_add_f32 v18, v24, v11 :: v_dual_fmac_f32 v13, 0x3ee1c552, v9
	v_add_f32_e32 v7, v7, v11
	v_sub_f32_e32 v51, v8, v22
	s_delay_alu instid0(VALU_DEP_4)
	v_fmac_f32_e32 v17, 0x3ee1c552, v9
	v_sub_f32_e32 v9, v29, v21
	v_add_f32_e32 v57, v13, v18
	v_sub_f32_e32 v61, v18, v13
	v_add_f32_e32 v13, v6, v5
	v_sub_f32_e32 v5, v5, v10
	v_sub_f32_e32 v6, v10, v6
	v_add_f32_e32 v78, v22, v8
	v_sub_f32_e32 v52, v7, v17
	v_dual_add_f32 v10, v10, v13 :: v_dual_add_f32 v77, v17, v7
	v_add_nc_u32_e32 v7, 0x800, v0
	v_add_nc_u32_e32 v18, 0x1400, v0
	s_delay_alu instid0(VALU_DEP_3) | instskip(NEXT) | instid1(VALU_DEP_1)
	v_add_f32_e32 v48, v64, v10
	v_dual_sub_f32 v11, v32, v16 :: v_dual_fmamk_f32 v10, v10, 0xbf955555, v48
	s_delay_alu instid0(VALU_DEP_1) | instskip(SKIP_2) | instid1(VALU_DEP_3)
	v_add_f32_e32 v15, v12, v11
	v_sub_f32_e32 v13, v12, v11
	v_dual_sub_f32 v11, v11, v9 :: v_dual_sub_f32 v12, v9, v12
	v_add_f32_e32 v9, v15, v9
	s_delay_alu instid0(VALU_DEP_3) | instskip(NEXT) | instid1(VALU_DEP_3)
	v_mul_f32_e32 v13, 0xbf08b237, v13
	v_mul_f32_e32 v16, 0x3f5ff5aa, v11
	;; [unrolled: 1-line block ×3, first 2 shown]
	s_delay_alu instid0(VALU_DEP_3) | instskip(NEXT) | instid1(VALU_DEP_3)
	v_fmamk_f32 v62, v12, 0x3eae86e6, v13
	v_fma_f32 v64, 0xbeae86e6, v12, -v16
	v_fma_f32 v63, 0x3f5ff5aa, v11, -v13
	s_delay_alu instid0(VALU_DEP_2) | instskip(SKIP_1) | instid1(VALU_DEP_1)
	v_fmac_f32_e32 v64, 0x3ee1c552, v9
	v_mul_f32_e32 v5, 0x3f4a47b2, v5
	v_fmamk_f32 v6, v6, 0x3d64c772, v5
	v_fma_f32 v5, 0xbf3bfb3b, v14, -v5
	s_delay_alu instid0(VALU_DEP_1) | instskip(NEXT) | instid1(VALU_DEP_1)
	v_dual_add_f32 v76, v5, v10 :: v_dual_add_nc_u32 v5, 0xc00, v0
	v_sub_f32_e32 v80, v76, v64
	s_delay_alu instid0(VALU_DEP_4) | instskip(SKIP_4) | instid1(VALU_DEP_4)
	v_dual_add_f32 v64, v64, v76 :: v_dual_add_f32 v65, v6, v10
	v_fmac_f32_e32 v62, 0x3ee1c552, v9
	v_add_nc_u32_e32 v6, 0x1000, v0
	v_fmac_f32_e32 v63, 0x3ee1c552, v9
	v_add_nc_u32_e32 v9, 0x400, v0
	v_dual_sub_f32 v79, v65, v62 :: v_dual_add_f32 v62, v62, v65
	v_fma_f32 v15, 0x3f3bfb3b, v14, -v15
	s_delay_alu instid0(VALU_DEP_1)
	v_add_f32_e32 v67, v15, v10
	ds_load_b32 v28, v55
	ds_load_2addr_b32 v[12:13], v5 offset0:72 offset1:128
	ds_load_2addr_b32 v[10:11], v6 offset0:40 offset1:96
	;; [unrolled: 1-line block ×6, first 2 shown]
	v_add_nc_u32_e32 v5, 0xa00, v0
	ds_load_b32 v32, v0
	ds_load_b32 v33, v54
	;; [unrolled: 1-line block ×4, first 2 shown]
	ds_load_2addr_b32 v[14:15], v9 offset0:192 offset1:248
	ds_load_2addr_b32 v[5:6], v5 offset0:88 offset1:144
	;; [unrolled: 1-line block ×3, first 2 shown]
	ds_load_b32 v29, v53
	ds_load_b32 v9, v60
	global_wb scope:SCOPE_SE
	s_wait_dscnt 0x0
	v_add_f32_e32 v81, v63, v67
	v_sub_f32_e32 v63, v67, v63
	s_barrier_signal -1
	s_barrier_wait -1
	global_inv scope:SCOPE_SE
	ds_store_2addr_b32 v75, v38, v42 offset1:40
	ds_store_2addr_b32 v75, v44, v49 offset0:80 offset1:120
	ds_store_2addr_b32 v75, v50, v46 offset0:160 offset1:200
	ds_store_b32 v75, v47 offset:960
	ds_store_2addr_b32 v74, v41, v51 offset1:40
	ds_store_2addr_b32 v74, v52, v57 offset0:80 offset1:120
	ds_store_2addr_b32 v74, v61, v77 offset0:160 offset1:200
	ds_store_b32 v74, v78 offset:960
	ds_store_2addr_b32 v73, v48, v79 offset1:40
	ds_store_2addr_b32 v73, v80, v81 offset0:80 offset1:120
	ds_store_2addr_b32 v73, v63, v64 offset0:160 offset1:200
	ds_store_b32 v73, v62 offset:960
	s_and_saveexec_b32 s1, s0
	s_cbranch_execz .LBB0_43
; %bb.42:
	v_dual_add_f32 v30, v31, v30 :: v_dual_add_f32 v31, v34, v45
	v_dual_sub_f32 v27, v27, v37 :: v_dual_add_f32 v34, v40, v43
	v_sub_f32_e32 v26, v26, v39
	s_delay_alu instid0(VALU_DEP_3) | instskip(SKIP_1) | instid1(VALU_DEP_4)
	v_dual_sub_f32 v35, v36, v35 :: v_dual_add_f32 v36, v31, v30
	v_sub_f32_e32 v37, v31, v30
	v_sub_f32_e32 v30, v30, v34
	s_delay_alu instid0(VALU_DEP_3) | instskip(NEXT) | instid1(VALU_DEP_4)
	v_dual_sub_f32 v31, v34, v31 :: v_dual_add_f32 v38, v35, v26
	v_add_f32_e32 v34, v34, v36
	v_sub_f32_e32 v36, v35, v26
	s_delay_alu instid0(VALU_DEP_4) | instskip(SKIP_3) | instid1(VALU_DEP_4)
	v_dual_sub_f32 v35, v27, v35 :: v_dual_mul_f32 v30, 0x3f4a47b2, v30
	v_sub_f32_e32 v26, v26, v27
	v_add_f32_e32 v27, v38, v27
	v_mul_f32_e32 v39, 0x3d64c772, v31
	v_fmamk_f32 v31, v31, 0x3d64c772, v30
	v_mul_f32_e32 v36, 0xbf08b237, v36
	v_fma_f32 v30, 0xbf3bfb3b, v37, -v30
	s_delay_alu instid0(VALU_DEP_4) | instskip(SKIP_1) | instid1(VALU_DEP_4)
	v_fma_f32 v39, 0x3f3bfb3b, v37, -v39
	v_mul_f32_e32 v40, 0x3f5ff5aa, v26
	v_fmamk_f32 v37, v35, 0x3eae86e6, v36
	s_delay_alu instid0(VALU_DEP_1) | instskip(NEXT) | instid1(VALU_DEP_1)
	v_dual_add_f32 v38, v59, v34 :: v_dual_fmac_f32 v37, 0x3ee1c552, v27
	v_fmamk_f32 v34, v34, 0xbf955555, v38
	s_delay_alu instid0(VALU_DEP_1) | instskip(SKIP_2) | instid1(VALU_DEP_2)
	v_add_f32_e32 v31, v31, v34
	v_fma_f32 v26, 0x3f5ff5aa, v26, -v36
	v_add_f32_e32 v36, v39, v34
	v_fmac_f32_e32 v26, 0x3ee1c552, v27
	s_delay_alu instid0(VALU_DEP_1) | instskip(SKIP_1) | instid1(VALU_DEP_1)
	v_add_f32_e32 v39, v26, v36
	v_fma_f32 v35, 0xbeae86e6, v35, -v40
	v_fmac_f32_e32 v35, 0x3ee1c552, v27
	v_sub_f32_e32 v27, v31, v37
	v_dual_add_f32 v31, v37, v31 :: v_dual_add_f32 v30, v30, v34
	v_sub_f32_e32 v26, v36, v26
	v_add_nc_u32_e32 v36, 0x1000, v66
	s_delay_alu instid0(VALU_DEP_3)
	v_sub_f32_e32 v34, v30, v35
	v_add_f32_e32 v30, v35, v30
	v_add_nc_u32_e32 v35, 0x1400, v66
	ds_store_2addr_b32 v36, v38, v27 offset0:96 offset1:136
	ds_store_2addr_b32 v36, v34, v39 offset0:176 offset1:216
	ds_store_2addr_b32 v35, v26, v30 offset1:40
	ds_store_b32 v66, v31 offset:5440
.LBB0_43:
	s_wait_alu 0xfffe
	s_or_b32 exec_lo, exec_lo, s1
	global_wb scope:SCOPE_SE
	s_wait_dscnt 0x0
	s_barrier_signal -1
	s_barrier_wait -1
	global_inv scope:SCOPE_SE
	s_and_saveexec_b32 s0, vcc_lo
	s_cbranch_execz .LBB0_45
; %bb.44:
	v_dual_mov_b32 v27, 0 :: v_dual_lshlrev_b32 v26, 2, v72
	v_mul_lo_u32 v67, s3, v3
	v_mad_co_u64_u32 v[90:91], null, s2, v3, 0
	s_delay_alu instid0(VALU_DEP_3) | instskip(NEXT) | instid1(VALU_DEP_1)
	v_lshlrev_b64_e32 v[30:31], 3, v[26:27]
	v_add_co_u32 v30, vcc_lo, s8, v30
	s_wait_alu 0xfffd
	s_delay_alu instid0(VALU_DEP_2)
	v_add_co_ci_u32_e32 v31, vcc_lo, s9, v31, vcc_lo
	s_clause 0x1
	global_load_b128 v[34:37], v[30:31], off offset:2224
	global_load_b128 v[38:41], v[30:31], off offset:2240
	v_lshlrev_b32_e32 v26, 2, v71
	v_add_nc_u32_e32 v52, 0x400, v0
	v_add_nc_u32_e32 v50, 0x1400, v0
	;; [unrolled: 1-line block ×3, first 2 shown]
	s_delay_alu instid0(VALU_DEP_4) | instskip(SKIP_1) | instid1(VALU_DEP_2)
	v_lshlrev_b64_e32 v[30:31], 3, v[26:27]
	v_lshlrev_b32_e32 v26, 2, v70
	v_add_co_u32 v30, vcc_lo, s8, v30
	s_wait_alu 0xfffd
	s_delay_alu instid0(VALU_DEP_3)
	v_add_co_ci_u32_e32 v31, vcc_lo, s9, v31, vcc_lo
	s_clause 0x1
	global_load_b128 v[42:45], v[30:31], off offset:2224
	global_load_b128 v[46:49], v[30:31], off offset:2240
	v_lshlrev_b64_e32 v[30:31], 3, v[26:27]
	v_lshlrev_b32_e32 v26, 2, v69
	v_mul_lo_u32 v69, s2, v4
	s_delay_alu instid0(VALU_DEP_3) | instskip(SKIP_1) | instid1(VALU_DEP_4)
	v_add_co_u32 v30, vcc_lo, s8, v30
	s_wait_alu 0xfffd
	v_add_co_ci_u32_e32 v31, vcc_lo, s9, v31, vcc_lo
	s_clause 0x1
	global_load_b128 v[61:64], v[30:31], off offset:2224
	global_load_b128 v[70:73], v[30:31], off offset:2240
	v_lshlrev_b64_e32 v[30:31], 3, v[26:27]
	v_lshlrev_b32_e32 v26, 2, v68
	v_add3_u32 v91, v91, v69, v67
	s_delay_alu instid0(VALU_DEP_2) | instskip(NEXT) | instid1(VALU_DEP_4)
	v_lshlrev_b64_e32 v[26:27], 3, v[26:27]
	v_add_co_u32 v30, vcc_lo, s8, v30
	s_wait_alu 0xfffd
	v_add_co_ci_u32_e32 v31, vcc_lo, s9, v31, vcc_lo
	s_clause 0x1
	global_load_b128 v[74:77], v[30:31], off offset:2224
	global_load_b128 v[78:81], v[30:31], off offset:2240
	v_add_co_u32 v26, vcc_lo, s8, v26
	s_wait_alu 0xfffd
	v_add_co_ci_u32_e32 v27, vcc_lo, s9, v27, vcc_lo
	s_clause 0x1
	global_load_b128 v[82:85], v[26:27], off offset:2224
	global_load_b128 v[86:89], v[26:27], off offset:2240
	v_add_nc_u32_e32 v30, 0xa00, v0
	ds_load_2addr_b32 v[26:27], v52 offset0:192 offset1:248
	ds_load_2addr_b32 v[30:31], v30 offset0:88 offset1:144
	ds_load_2addr_b32 v[50:51], v50 offset0:8 offset1:64
	ds_load_2addr_b32 v[65:66], v57 offset0:40 offset1:96
	v_add_nc_u32_e32 v59, 0xc00, v0
	s_wait_loadcnt_dscnt 0x800
	v_dual_mul_f32 v69, v36, v31 :: v_dual_mul_f32 v98, v38, v65
	v_dual_mul_f32 v67, v34, v27 :: v_dual_add_nc_u32 v92, 0x800, v0
	v_mul_f32_e32 v27, v35, v27
	s_delay_alu instid0(VALU_DEP_3)
	v_fmac_f32_e32 v69, v6, v37
	ds_load_b32 v93, v53
	ds_load_b32 v94, v55
	ds_load_b32 v60, v60
	ds_load_b32 v95, v58
	ds_load_b32 v96, v56
	ds_load_b32 v97, v54
	ds_load_b32 v0, v0
	ds_load_2addr_b32 v[3:4], v59 offset0:184 offset1:240
	ds_load_2addr_b32 v[52:53], v52 offset0:80 offset1:136
	;; [unrolled: 1-line block ×5, first 2 shown]
	v_mul_f32_e32 v92, v40, v51
	v_mul_f32_e32 v31, v37, v31
	;; [unrolled: 1-line block ×4, first 2 shown]
	v_fmac_f32_e32 v67, v15, v35
	v_fmac_f32_e32 v92, v19, v41
	;; [unrolled: 1-line block ×3, first 2 shown]
	v_fma_f32 v31, v6, v36, -v31
	v_fma_f32 v35, v10, v38, -v65
	;; [unrolled: 1-line block ×4, first 2 shown]
	v_sub_f32_e32 v101, v69, v67
	s_wait_loadcnt 0x7
	v_mul_f32_e32 v15, v43, v26
	v_dual_mul_f32 v34, v44, v30 :: v_dual_sub_f32 v39, v31, v35
	v_dual_mul_f32 v10, v42, v26 :: v_dual_sub_f32 v51, v27, v35
	s_wait_loadcnt_dscnt 0x604
	v_dual_mul_f32 v36, v46, v4 :: v_dual_mul_f32 v19, v49, v50
	v_mul_f32_e32 v37, v48, v50
	v_dual_mul_f32 v26, v45, v30 :: v_dual_add_f32 v65, v31, v35
	v_dual_mul_f32 v4, v47, v4 :: v_dual_add_f32 v41, v69, v98
	v_sub_f32_e32 v30, v67, v69
	v_dual_sub_f32 v102, v98, v92 :: v_dual_add_f32 v107, v9, v6
	v_dual_sub_f32 v38, v92, v98 :: v_dual_sub_f32 v99, v67, v92
	v_dual_sub_f32 v40, v6, v27 :: v_dual_add_f32 v103, v67, v92
	v_dual_sub_f32 v50, v6, v31 :: v_dual_add_f32 v67, v67, v60
	v_dual_sub_f32 v100, v69, v98 :: v_dual_sub_f32 v105, v35, v27
	v_dual_sub_f32 v104, v31, v6 :: v_dual_fmac_f32 v37, v18, v49
	v_add_f32_e32 v106, v6, v27
	s_wait_loadcnt_dscnt 0x502
	v_dual_fmac_f32 v34, v5, v45 :: v_dual_mul_f32 v45, v63, v55
	v_fmac_f32_e32 v10, v14, v43
	v_fma_f32 v14, v14, v42, -v15
	v_fma_f32 v42, v18, v48, -v19
	v_fmac_f32_e32 v36, v8, v47
	v_fma_f32 v26, v5, v44, -v26
	v_fma_f32 v43, v8, v46, -v4
	s_wait_loadcnt 0x4
	v_dual_mul_f32 v44, v61, v53 :: v_dual_mul_f32 v47, v70, v3
	s_wait_dscnt 0x1
	v_dual_mul_f32 v46, v72, v57 :: v_dual_mul_f32 v15, v71, v3
	v_dual_mul_f32 v18, v62, v53 :: v_dual_add_f32 v49, v69, v67
	v_mul_f32_e32 v19, v73, v57
	v_fma_f32 v4, -0.5, v41, v60
	v_dual_add_f32 v41, v101, v102 :: v_dual_mul_f32 v8, v64, v55
	v_add_f32_e32 v55, v10, v37
	v_dual_add_f32 v30, v30, v38 :: v_dual_add_f32 v31, v107, v31
	v_fma_f32 v3, -0.5, v65, v9
	v_fma_f32 v6, -0.5, v103, v60
	v_dual_add_f32 v48, v104, v105 :: v_dual_sub_f32 v57, v26, v43
	v_fma_f32 v5, -0.5, v106, v9
	v_sub_f32_e32 v53, v14, v42
	v_dual_add_f32 v38, v50, v51 :: v_dual_sub_f32 v51, v36, v37
	v_dual_sub_f32 v50, v34, v10 :: v_dual_sub_f32 v103, v37, v36
	v_dual_sub_f32 v60, v26, v14 :: v_dual_fmac_f32 v45, v23, v64
	v_dual_sub_f32 v65, v43, v42 :: v_dual_add_f32 v104, v34, v36
	v_dual_add_f32 v67, v14, v42 :: v_dual_fmac_f32 v46, v21, v73
	v_dual_sub_f32 v69, v34, v36 :: v_dual_fmac_f32 v44, v17, v62
	v_sub_f32_e32 v101, v10, v37
	v_dual_sub_f32 v102, v10, v34 :: v_dual_fmac_f32 v47, v7, v71
	v_sub_f32_e32 v105, v14, v26
	v_dual_sub_f32 v106, v42, v43 :: v_dual_add_f32 v109, v25, v14
	v_add_f32_e32 v107, v26, v43
	s_wait_loadcnt 0x2
	v_dual_add_f32 v108, v10, v95 :: v_dual_mul_f32 v71, v80, v56
	v_fma_f32 v62, v23, v63, -v8
	v_fma_f32 v63, v7, v70, -v15
	;; [unrolled: 1-line block ×4, first 2 shown]
	v_dual_mul_f32 v64, v74, v52 :: v_dual_mul_f32 v21, v77, v54
	v_mul_f32_e32 v70, v76, v54
	s_wait_dscnt 0x0
	v_dual_mul_f32 v72, v78, v59 :: v_dual_fmamk_f32 v7, v99, 0xbf737871, v3
	v_dual_mul_f32 v23, v79, v59 :: v_dual_fmamk_f32 v8, v40, 0x3f737871, v4
	v_mul_f32_e32 v52, v75, v52
	v_mul_f32_e32 v54, v81, v56
	v_fmamk_f32 v10, v39, 0xbf737871, v6
	v_dual_fmamk_f32 v9, v100, 0x3f737871, v5 :: v_dual_fmac_f32 v6, 0x3f737871, v39
	v_fmac_f32_e32 v5, 0xbf737871, v100
	v_dual_fmac_f32 v4, 0xbf737871, v40 :: v_dual_add_f32 v49, v98, v49
	v_dual_fmac_f32 v3, 0x3f737871, v99 :: v_dual_add_f32 v56, v105, v106
	v_dual_add_f32 v31, v31, v35 :: v_dual_add_f32 v26, v26, v109
	v_dual_add_f32 v50, v50, v51 :: v_dual_add_f32 v51, v60, v65
	v_fma_f32 v19, -0.5, v55, v95
	v_fma_f32 v18, -0.5, v67, v25
	v_add_f32_e32 v55, v102, v103
	v_fma_f32 v15, -0.5, v104, v95
	v_fma_f32 v14, -0.5, v107, v25
	v_dual_add_f32 v25, v34, v108 :: v_dual_sub_f32 v60, v17, v61
	v_dual_sub_f32 v34, v44, v45 :: v_dual_sub_f32 v35, v46, v47
	v_dual_sub_f32 v98, v44, v46 :: v_dual_sub_f32 v59, v62, v63
	v_dual_sub_f32 v104, v47, v46 :: v_dual_add_f32 v65, v45, v47
	v_dual_sub_f32 v106, v62, v17 :: v_dual_sub_f32 v67, v17, v62
	v_dual_sub_f32 v73, v61, v63 :: v_dual_fmac_f32 v70, v22, v77
	v_dual_add_f32 v95, v62, v63 :: v_dual_add_f32 v108, v17, v61
	v_dual_sub_f32 v102, v45, v47 :: v_dual_add_f32 v105, v44, v46
	v_dual_sub_f32 v103, v45, v44 :: v_dual_fmac_f32 v64, v16, v75
	v_dual_sub_f32 v107, v63, v61 :: v_dual_fmac_f32 v72, v13, v79
	v_add_f32_e32 v44, v44, v96
	v_add_f32_e32 v109, v24, v17
	v_fmac_f32_e32 v71, v20, v81
	v_fma_f32 v75, v22, v76, -v21
	v_fma_f32 v13, v13, v78, -v23
	;; [unrolled: 1-line block ×4, first 2 shown]
	s_wait_loadcnt 0x0
	v_dual_mul_f32 v74, v82, v93 :: v_dual_mul_f32 v77, v88, v66
	v_dual_mul_f32 v76, v84, v94 :: v_dual_fmac_f32 v7, 0xbf167918, v100
	v_mul_f32_e32 v78, v86, v58
	v_dual_mul_f32 v79, v85, v94 :: v_dual_mul_f32 v80, v83, v93
	v_mul_f32_e32 v58, v87, v58
	v_dual_mul_f32 v66, v89, v66 :: v_dual_fmac_f32 v9, 0xbf167918, v99
	v_dual_fmac_f32 v8, 0x3f167918, v39 :: v_dual_fmac_f32 v3, 0x3f167918, v100
	v_dual_fmac_f32 v10, 0x3f167918, v40 :: v_dual_fmac_f32 v5, 0x3f167918, v99
	v_dual_fmac_f32 v6, 0xbf167918, v40 :: v_dual_add_f32 v17, v92, v49
	v_fmac_f32_e32 v4, 0xbf167918, v39
	v_dual_add_f32 v16, v27, v31 :: v_dual_fmamk_f32 v21, v57, 0xbf737871, v19
	v_dual_fmamk_f32 v20, v69, 0x3f737871, v18 :: v_dual_fmac_f32 v19, 0x3f737871, v57
	v_fmamk_f32 v23, v53, 0xbf737871, v15
	v_dual_fmamk_f32 v22, v101, 0x3f737871, v14 :: v_dual_fmac_f32 v15, 0x3f737871, v53
	v_dual_add_f32 v31, v36, v25 :: v_dual_add_f32 v36, v26, v43
	v_dual_fmac_f32 v18, 0xbf737871, v69 :: v_dual_add_f32 v49, v34, v35
	v_fmac_f32_e32 v14, 0xbf737871, v101
	v_fma_f32 v27, -0.5, v65, v96
	v_dual_add_f32 v65, v67, v73 :: v_dual_add_f32 v34, v45, v44
	v_fma_f32 v26, -0.5, v95, v24
	v_add_f32_e32 v67, v103, v104
	v_fma_f32 v25, -0.5, v105, v96
	v_dual_add_f32 v35, v109, v62 :: v_dual_sub_f32 v62, v75, v13
	v_dual_sub_f32 v39, v64, v70 :: v_dual_add_f32 v92, v75, v13
	v_dual_sub_f32 v81, v52, v54 :: v_dual_sub_f32 v94, v70, v72
	v_dual_add_f32 v43, v70, v72 :: v_dual_sub_f32 v44, v52, v75
	v_dual_sub_f32 v45, v54, v13 :: v_dual_sub_f32 v96, v72, v71
	v_dual_sub_f32 v93, v64, v71 :: v_dual_sub_f32 v100, v75, v52
	v_dual_sub_f32 v95, v70, v64 :: v_dual_add_f32 v104, v52, v54
	v_dual_add_f32 v99, v64, v71 :: v_dual_add_f32 v52, v33, v52
	v_dual_sub_f32 v103, v13, v54 :: v_dual_add_f32 v64, v64, v97
	v_dual_fmac_f32 v74, v29, v83 :: v_dual_fmac_f32 v77, v11, v89
	v_dual_fmac_f32 v76, v28, v85 :: v_dual_fmac_f32 v7, 0x3e9e377a, v38
	v_dual_fmac_f32 v78, v12, v87 :: v_dual_fmac_f32 v9, 0x3e9e377a, v48
	v_fma_f32 v79, v28, v84, -v79
	v_fma_f32 v58, v12, v86, -v58
	v_dual_add_f32 v73, v106, v107 :: v_dual_sub_f32 v40, v71, v72
	v_fma_f32 v24, -0.5, v108, v24
	v_fma_f32 v80, v29, v82, -v80
	v_fma_f32 v66, v11, v88, -v66
	v_dual_fmac_f32 v10, 0x3e9e377a, v41 :: v_dual_fmac_f32 v3, 0x3e9e377a, v38
	v_dual_fmac_f32 v6, 0x3e9e377a, v41 :: v_dual_add_f32 v11, v36, v42
	v_dual_fmac_f32 v4, 0x3e9e377a, v30 :: v_dual_add_f32 v41, v35, v63
	;; [unrolled: 1-line block ×3, first 2 shown]
	v_fmac_f32_e32 v20, 0xbf167918, v101
	v_dual_fmac_f32 v23, 0xbf167918, v57 :: v_dual_add_f32 v38, v47, v34
	v_fmac_f32_e32 v19, 0xbf167918, v53
	v_fmac_f32_e32 v15, 0x3f167918, v57
	;; [unrolled: 1-line block ×4, first 2 shown]
	v_fmamk_f32 v29, v60, 0x3f737871, v27
	v_dual_fmamk_f32 v28, v98, 0xbf737871, v26 :: v_dual_fmac_f32 v27, 0xbf737871, v60
	v_fmamk_f32 v31, v59, 0x3f737871, v25
	v_fma_f32 v35, -0.5, v43, v97
	v_add_f32_e32 v53, v44, v45
	v_fma_f32 v34, -0.5, v92, v33
	v_add_f32_e32 v57, v95, v96
	v_fma_f32 v37, -0.5, v99, v97
	v_fma_f32 v36, -0.5, v104, v33
	v_dual_add_f32 v33, v70, v64 :: v_dual_sub_f32 v64, v79, v58
	v_dual_add_f32 v44, v52, v75 :: v_dual_sub_f32 v45, v74, v76
	v_dual_sub_f32 v47, v77, v78 :: v_dual_fmac_f32 v20, 0x3e9e377a, v51
	v_dual_add_f32 v52, v76, v78 :: v_dual_sub_f32 v75, v74, v77
	v_dual_add_f32 v70, v79, v58 :: v_dual_fmac_f32 v23, 0x3e9e377a, v55
	v_dual_fmac_f32 v8, 0x3e9e377a, v30 :: v_dual_fmac_f32 v5, 0x3e9e377a, v48
	v_dual_fmac_f32 v22, 0x3f167918, v69 :: v_dual_add_f32 v63, v100, v103
	v_dual_fmamk_f32 v30, v102, 0xbf737871, v24 :: v_dual_fmac_f32 v25, 0xbf737871, v59
	v_fmac_f32_e32 v26, 0x3f737871, v98
	v_fmac_f32_e32 v24, 0x3f737871, v102
	v_dual_add_f32 v48, v39, v40 :: v_dual_sub_f32 v69, v80, v66
	v_dual_fmac_f32 v22, 0x3e9e377a, v56 :: v_dual_fmac_f32 v15, 0x3e9e377a, v55
	v_dual_fmac_f32 v29, 0x3f167918, v59 :: v_dual_fmac_f32 v30, 0x3f167918, v98
	;; [unrolled: 1-line block ×4, first 2 shown]
	v_dual_add_f32 v39, v46, v38 :: v_dual_fmamk_f32 v40, v93, 0xbf737871, v34
	v_add_f32_e32 v38, v61, v41
	v_dual_fmamk_f32 v41, v81, 0x3f737871, v35 :: v_dual_fmamk_f32 v42, v94, 0x3f737871, v36
	v_dual_fmamk_f32 v43, v62, 0xbf737871, v37 :: v_dual_fmac_f32 v36, 0xbf737871, v94
	v_dual_fmac_f32 v37, 0x3f737871, v62 :: v_dual_fmac_f32 v34, 0x3f737871, v93
	v_add_f32_e32 v13, v44, v13
	v_dual_add_f32 v55, v45, v47 :: v_dual_fmac_f32 v28, 0x3e9e377a, v65
	v_fma_f32 v45, -0.5, v52, v0
	v_fma_f32 v44, -0.5, v70, v32
	v_fmac_f32_e32 v35, 0xbf737871, v81
	v_dual_fmac_f32 v21, 0x3e9e377a, v50 :: v_dual_fmac_f32 v18, 0x3e9e377a, v51
	v_dual_fmac_f32 v19, 0x3e9e377a, v50 :: v_dual_fmac_f32 v14, 0x3e9e377a, v56
	v_dual_add_f32 v33, v72, v33 :: v_dual_fmac_f32 v40, 0xbf167918, v94
	v_dual_fmac_f32 v41, 0x3f167918, v62 :: v_dual_fmac_f32 v36, 0x3f167918, v93
	v_fmac_f32_e32 v27, 0x3e9e377a, v49
	v_fmac_f32_e32 v43, 0x3f167918, v81
	v_dual_fmac_f32 v42, 0xbf167918, v93 :: v_dual_fmac_f32 v35, 0xbf167918, v62
	v_fmac_f32_e32 v29, 0x3e9e377a, v49
	v_fmac_f32_e32 v34, 0x3f167918, v94
	v_dual_fmamk_f32 v49, v69, 0x3f737871, v45 :: v_dual_add_f32 v50, v74, v77
	v_dual_fmac_f32 v24, 0x3e9e377a, v73 :: v_dual_fmac_f32 v41, 0x3e9e377a, v48
	v_add_f32_e32 v47, v71, v33
	v_dual_add_f32 v46, v54, v13 :: v_dual_fmac_f32 v35, 0x3e9e377a, v48
	v_dual_fmac_f32 v40, 0x3e9e377a, v53 :: v_dual_sub_f32 v13, v80, v79
	v_dual_fmac_f32 v34, 0x3e9e377a, v53 :: v_dual_sub_f32 v33, v66, v58
	v_fmamk_f32 v48, v75, 0xbf737871, v44
	v_dual_sub_f32 v54, v76, v78 :: v_dual_fmac_f32 v37, 0xbf167918, v81
	v_dual_fmac_f32 v43, 0x3e9e377a, v57 :: v_dual_add_f32 v56, v80, v66
	v_dual_fmac_f32 v49, 0x3f167918, v64 :: v_dual_sub_f32 v52, v78, v77
	v_fma_f32 v51, -0.5, v50, v0
	v_sub_f32_e32 v50, v76, v74
	v_fmac_f32_e32 v48, 0xbf167918, v54
	v_fmac_f32_e32 v37, 0x3e9e377a, v57
	v_sub_f32_e32 v57, v58, v66
	v_dual_fmamk_f32 v53, v64, 0x3f737871, v51 :: v_dual_add_f32 v0, v74, v0
	v_add_f32_e32 v61, v50, v52
	v_fma_f32 v50, -0.5, v56, v32
	v_add_f32_e32 v13, v13, v33
	v_lshrrev_b32_e32 v33, 3, v68
	v_fmac_f32_e32 v42, 0x3e9e377a, v63
	v_fmac_f32_e32 v36, 0x3e9e377a, v63
	v_fmamk_f32 v52, v54, 0xbf737871, v50
	v_dual_fmac_f32 v53, 0xbf167918, v69 :: v_dual_add_f32 v0, v76, v0
	v_mul_hi_u32 v33, 0xea0ea0f, v33
	v_dual_sub_f32 v56, v79, v80 :: v_dual_fmac_f32 v45, 0xbf737871, v69
	s_delay_alu instid0(VALU_DEP_4) | instskip(NEXT) | instid1(VALU_DEP_4)
	v_fmac_f32_e32 v52, 0x3f167918, v75
	v_add_f32_e32 v0, v78, v0
	v_fmac_f32_e32 v44, 0x3f737871, v75
	s_delay_alu instid0(VALU_DEP_4) | instskip(SKIP_4) | instid1(VALU_DEP_4)
	v_add_f32_e32 v62, v56, v57
	v_dual_fmac_f32 v53, 0x3e9e377a, v61 :: v_dual_add_f32 v56, v32, v80
	v_lshrrev_b32_e32 v33, 1, v33
	v_fmac_f32_e32 v45, 0xbf167918, v64
	v_dual_fmac_f32 v49, 0x3e9e377a, v55 :: v_dual_fmac_f32 v48, 0x3e9e377a, v13
	v_add_f32_e32 v56, v56, v79
	s_delay_alu instid0(VALU_DEP_4) | instskip(NEXT) | instid1(VALU_DEP_4)
	v_mul_u32_u24_e32 v33, 0x118, v33
	v_dual_fmac_f32 v52, 0x3e9e377a, v62 :: v_dual_fmac_f32 v45, 0x3e9e377a, v55
	v_add_f32_e32 v55, v77, v0
	v_fmac_f32_e32 v51, 0xbf737871, v64
	s_delay_alu instid0(VALU_DEP_4) | instskip(SKIP_2) | instid1(VALU_DEP_4)
	v_sub_nc_u32_e32 v63, v68, v33
	v_fmac_f32_e32 v44, 0x3f167918, v54
	v_dual_fmac_f32 v26, 0x3f167918, v102 :: v_dual_fmac_f32 v25, 0x3f167918, v60
	v_fmac_f32_e32 v51, 0x3f167918, v69
	s_delay_alu instid0(VALU_DEP_4) | instskip(NEXT) | instid1(VALU_DEP_4)
	v_mad_co_u64_u32 v[32:33], null, s16, v63, 0
	v_dual_fmac_f32 v44, 0x3e9e377a, v13 :: v_dual_add_f32 v13, v56, v58
	s_delay_alu instid0(VALU_DEP_4) | instskip(SKIP_3) | instid1(VALU_DEP_1)
	v_dual_fmac_f32 v26, 0x3e9e377a, v65 :: v_dual_fmac_f32 v25, 0x3e9e377a, v67
	v_add_nc_u32_e32 v64, 0x230, v63
	v_dual_fmac_f32 v31, 0x3e9e377a, v67 :: v_dual_fmac_f32 v30, 0x3e9e377a, v73
	v_dual_mov_b32 v0, v33 :: v_dual_fmac_f32 v51, 0x3e9e377a, v61
	v_mad_co_u64_u32 v[56:57], null, s17, v63, v[0:1]
	v_fmac_f32_e32 v50, 0x3f737871, v54
	v_dual_add_f32 v54, v66, v13 :: v_dual_add_nc_u32 v13, 0x118, v63
	v_lshlrev_b64_e32 v[57:58], 3, v[90:91]
	v_lshlrev_b64_e32 v[0:1], 3, v[1:2]
	v_dual_mov_b32 v33, v56 :: v_dual_add_nc_u32 v66, 56, v68
	s_delay_alu instid0(VALU_DEP_4) | instskip(NEXT) | instid1(VALU_DEP_4)
	v_mad_co_u64_u32 v[59:60], null, s16, v13, 0
	v_add_co_u32 v65, vcc_lo, s6, v57
	s_wait_alu 0xfffd
	v_add_co_ci_u32_e32 v58, vcc_lo, s7, v58, vcc_lo
	v_mad_co_u64_u32 v[56:57], null, s16, v64, 0
	s_delay_alu instid0(VALU_DEP_4)
	v_mov_b32_e32 v2, v60
	v_add_co_u32 v65, vcc_lo, v65, v0
	s_wait_alu 0xfffd
	v_add_co_ci_u32_e32 v67, vcc_lo, v58, v1, vcc_lo
	v_lshlrev_b64_e32 v[0:1], 3, v[32:33]
	v_mad_co_u64_u32 v[32:33], null, s17, v13, v[2:3]
	v_lshrrev_b32_e32 v58, 3, v66
	v_mov_b32_e32 v2, v57
	s_delay_alu instid0(VALU_DEP_4) | instskip(NEXT) | instid1(VALU_DEP_3)
	v_add_co_u32 v0, vcc_lo, v65, v0
	v_mul_hi_u32 v13, 0xea0ea0f, v58
	s_wait_alu 0xfffd
	v_add_co_ci_u32_e32 v1, vcc_lo, v67, v1, vcc_lo
	v_mov_b32_e32 v60, v32
	global_store_b64 v[0:1], v[54:55], off
	v_lshlrev_b64_e32 v[0:1], 3, v[59:60]
	v_add_nc_u32_e32 v59, 0x348, v63
	v_mad_co_u64_u32 v[57:58], null, s17, v64, v[2:3]
	v_lshrrev_b32_e32 v58, 1, v13
	v_add_nc_u32_e32 v60, 0x460, v63
	s_delay_alu instid0(VALU_DEP_4) | instskip(SKIP_1) | instid1(VALU_DEP_4)
	v_mad_co_u64_u32 v[32:33], null, s16, v59, 0
	v_add_co_u32 v0, vcc_lo, v65, v0
	v_mul_u32_u24_e32 v2, 0x118, v58
	s_delay_alu instid0(VALU_DEP_4)
	v_mad_co_u64_u32 v[54:55], null, s16, v60, 0
	v_fmac_f32_e32 v50, 0xbf167918, v75
	s_wait_alu 0xfffd
	v_add_co_ci_u32_e32 v1, vcc_lo, v67, v1, vcc_lo
	v_sub_nc_u32_e32 v61, v66, v2
	v_lshlrev_b64_e32 v[56:57], 3, v[56:57]
	v_dual_mov_b32 v13, v55 :: v_dual_fmac_f32 v50, 0x3e9e377a, v62
	s_delay_alu instid0(VALU_DEP_3)
	v_mad_u32_u24 v62, 0x578, v58, v61
	v_mov_b32_e32 v2, v33
	global_store_b64 v[0:1], v[44:45], off
	v_add_co_u32 v56, vcc_lo, v65, v56
	s_wait_alu 0xfffd
	v_add_co_ci_u32_e32 v57, vcc_lo, v67, v57, vcc_lo
	v_mad_co_u64_u32 v[58:59], null, s17, v59, v[2:3]
	v_mad_co_u64_u32 v[59:60], null, s17, v60, v[13:14]
	;; [unrolled: 1-line block ×3, first 2 shown]
	v_add_nc_u32_e32 v13, 0x118, v62
	global_store_b64 v[56:57], v[52:53], off
	v_mov_b32_e32 v33, v58
	v_mov_b32_e32 v55, v59
	v_dual_mov_b32 v0, v61 :: v_dual_add_nc_u32 v59, 0x230, v62
	s_delay_alu instid0(VALU_DEP_3) | instskip(SKIP_1) | instid1(VALU_DEP_4)
	v_lshlrev_b64_e32 v[1:2], 3, v[32:33]
	v_mad_co_u64_u32 v[52:53], null, s16, v13, 0
	v_lshlrev_b64_e32 v[32:33], 3, v[54:55]
	s_delay_alu instid0(VALU_DEP_4) | instskip(NEXT) | instid1(VALU_DEP_4)
	v_mad_co_u64_u32 v[54:55], null, s16, v59, 0
	v_mad_co_u64_u32 v[44:45], null, s17, v62, v[0:1]
	v_add_co_u32 v0, vcc_lo, v65, v1
	s_wait_alu 0xfffd
	v_add_co_ci_u32_e32 v1, vcc_lo, v67, v2, vcc_lo
	v_mov_b32_e32 v2, v53
	v_add_co_u32 v32, vcc_lo, v65, v32
	v_mov_b32_e32 v61, v44
	s_wait_alu 0xfffd
	v_add_co_ci_u32_e32 v33, vcc_lo, v67, v33, vcc_lo
	v_mad_co_u64_u32 v[56:57], null, s17, v13, v[2:3]
	v_add_nc_u32_e32 v13, 0x348, v62
	v_lshlrev_b64_e32 v[44:45], 3, v[60:61]
	v_dual_mov_b32 v2, v55 :: v_dual_add_nc_u32 v61, 0x70, v68
	s_delay_alu instid0(VALU_DEP_3) | instskip(NEXT) | instid1(VALU_DEP_2)
	v_mad_co_u64_u32 v[57:58], null, s16, v13, 0
	v_lshrrev_b32_e32 v53, 3, v61
	s_delay_alu instid0(VALU_DEP_4) | instskip(SKIP_2) | instid1(VALU_DEP_3)
	v_add_co_u32 v44, vcc_lo, v65, v44
	s_wait_alu 0xfffd
	v_add_co_ci_u32_e32 v45, vcc_lo, v67, v45, vcc_lo
	v_mul_hi_u32 v55, 0xea0ea0f, v53
	s_clause 0x2
	global_store_b64 v[0:1], v[50:51], off
	global_store_b64 v[32:33], v[48:49], off
	;; [unrolled: 1-line block ×3, first 2 shown]
	v_add_nc_u32_e32 v50, 0x460, v62
	v_mad_co_u64_u32 v[59:60], null, s17, v59, v[2:3]
	v_dual_mov_b32 v2, v58 :: v_dual_mov_b32 v53, v56
	s_delay_alu instid0(VALU_DEP_3) | instskip(SKIP_1) | instid1(VALU_DEP_3)
	v_mad_co_u64_u32 v[44:45], null, s16, v50, 0
	v_lshrrev_b32_e32 v46, 1, v55
	v_mad_co_u64_u32 v[32:33], null, s17, v13, v[2:3]
	v_mov_b32_e32 v55, v59
	v_lshlrev_b64_e32 v[0:1], 3, v[52:53]
	s_delay_alu instid0(VALU_DEP_4) | instskip(NEXT) | instid1(VALU_DEP_1)
	v_mul_u32_u24_e32 v47, 0x118, v46
	v_sub_nc_u32_e32 v2, v61, v47
	s_delay_alu instid0(VALU_DEP_3) | instskip(SKIP_1) | instid1(VALU_DEP_4)
	v_add_co_u32 v0, vcc_lo, v65, v0
	s_wait_alu 0xfffd
	v_add_co_ci_u32_e32 v1, vcc_lo, v67, v1, vcc_lo
	s_delay_alu instid0(VALU_DEP_3)
	v_mad_u32_u24 v13, 0x578, v46, v2
	v_mov_b32_e32 v2, v45
	v_lshlrev_b64_e32 v[46:47], 3, v[54:55]
	global_store_b64 v[0:1], v[34:35], off
	v_add_nc_u32_e32 v55, 0x118, v13
	v_mad_co_u64_u32 v[50:51], null, s17, v50, v[2:3]
	v_mov_b32_e32 v58, v32
	v_mad_co_u64_u32 v[32:33], null, s16, v13, 0
	s_delay_alu instid0(VALU_DEP_4)
	v_mad_co_u64_u32 v[51:52], null, s16, v55, 0
	v_add_co_u32 v46, vcc_lo, v65, v46
	v_mov_b32_e32 v45, v50
	v_lshlrev_b64_e32 v[48:49], 3, v[57:58]
	v_mov_b32_e32 v2, v33
	s_wait_alu 0xfffd
	v_add_co_ci_u32_e32 v47, vcc_lo, v67, v47, vcc_lo
	v_mov_b32_e32 v0, v52
	v_add_nc_u32_e32 v50, 0xa8, v68
	v_mad_co_u64_u32 v[53:54], null, s17, v13, v[2:3]
	v_lshlrev_b64_e32 v[1:2], 3, v[44:45]
	v_add_co_u32 v48, vcc_lo, v65, v48
	s_wait_alu 0xfffd
	v_add_co_ci_u32_e32 v49, vcc_lo, v67, v49, vcc_lo
	s_clause 0x1
	global_store_b64 v[46:47], v[36:37], off
	global_store_b64 v[48:49], v[42:43], off
	v_mad_co_u64_u32 v[34:35], null, s17, v55, v[0:1]
	v_add_nc_u32_e32 v46, 0x230, v13
	v_lshrrev_b32_e32 v42, 3, v50
	v_add_nc_u32_e32 v48, 0x348, v13
	v_add_co_u32 v0, vcc_lo, v65, v1
	s_wait_alu 0xfffd
	v_add_co_ci_u32_e32 v1, vcc_lo, v67, v2, vcc_lo
	v_mov_b32_e32 v52, v34
	v_mad_co_u64_u32 v[34:35], null, s16, v46, 0
	v_mov_b32_e32 v33, v53
	s_delay_alu instid0(VALU_DEP_3) | instskip(NEXT) | instid1(VALU_DEP_2)
	v_lshlrev_b64_e32 v[36:37], 3, v[51:52]
	v_lshlrev_b64_e32 v[32:33], 3, v[32:33]
	s_delay_alu instid0(VALU_DEP_4) | instskip(SKIP_2) | instid1(VALU_DEP_3)
	v_dual_mov_b32 v2, v35 :: v_dual_add_nc_u32 v35, 0x460, v13
	v_mul_hi_u32 v13, 0xea0ea0f, v42
	v_mad_co_u64_u32 v[42:43], null, s16, v48, 0
	v_mad_co_u64_u32 v[46:47], null, s17, v46, v[2:3]
	s_delay_alu instid0(VALU_DEP_4)
	v_mad_co_u64_u32 v[44:45], null, s16, v35, 0
	v_add_co_u32 v32, vcc_lo, v65, v32
	v_lshrrev_b32_e32 v51, 1, v13
	v_mov_b32_e32 v13, v43
	s_wait_alu 0xfffd
	v_add_co_ci_u32_e32 v33, vcc_lo, v67, v33, vcc_lo
	v_mov_b32_e32 v2, v45
	v_mul_u32_u24_e32 v43, 0x118, v51
	v_mad_co_u64_u32 v[47:48], null, s17, v48, v[13:14]
	v_add_co_u32 v36, vcc_lo, v65, v36
	s_delay_alu instid0(VALU_DEP_4) | instskip(NEXT) | instid1(VALU_DEP_4)
	v_mad_co_u64_u32 v[48:49], null, s17, v35, v[2:3]
	v_sub_nc_u32_e32 v2, v50, v43
	v_mov_b32_e32 v35, v46
	s_wait_alu 0xfffd
	v_add_co_ci_u32_e32 v37, vcc_lo, v67, v37, vcc_lo
	v_mov_b32_e32 v43, v47
	s_clause 0x2
	global_store_b64 v[0:1], v[40:41], off
	global_store_b64 v[32:33], v[38:39], off
	;; [unrolled: 1-line block ×3, first 2 shown]
	v_mad_u32_u24 v41, 0x578, v51, v2
	v_lshlrev_b64_e32 v[0:1], 3, v[34:35]
	v_mov_b32_e32 v45, v48
	v_lshlrev_b64_e32 v[32:33], 3, v[42:43]
	s_delay_alu instid0(VALU_DEP_4) | instskip(NEXT) | instid1(VALU_DEP_4)
	v_mad_co_u64_u32 v[26:27], null, s16, v41, 0
	v_add_co_u32 v0, vcc_lo, v65, v0
	s_delay_alu instid0(VALU_DEP_4)
	v_lshlrev_b64_e32 v[34:35], 3, v[44:45]
	s_wait_alu 0xfffd
	v_add_co_ci_u32_e32 v1, vcc_lo, v67, v1, vcc_lo
	v_add_nc_u32_e32 v13, 0x118, v41
	v_add_co_u32 v32, vcc_lo, v65, v32
	s_wait_alu 0xfffd
	v_add_co_ci_u32_e32 v33, vcc_lo, v67, v33, vcc_lo
	v_mov_b32_e32 v2, v27
	v_add_co_u32 v34, vcc_lo, v65, v34
	v_mad_co_u64_u32 v[36:37], null, s16, v13, 0
	s_wait_alu 0xfffd
	v_add_co_ci_u32_e32 v35, vcc_lo, v67, v35, vcc_lo
	s_clause 0x2
	global_store_b64 v[0:1], v[30:31], off
	global_store_b64 v[32:33], v[24:25], off
	;; [unrolled: 1-line block ×3, first 2 shown]
	v_add_nc_u32_e32 v35, 0x460, v41
	v_mad_co_u64_u32 v[38:39], null, s17, v41, v[2:3]
	v_add_nc_u32_e32 v30, 0x230, v41
	v_mov_b32_e32 v2, v37
	v_add_nc_u32_e32 v32, 0x348, v41
	v_add_nc_u32_e32 v34, 0xe0, v68
	s_delay_alu instid0(VALU_DEP_4) | instskip(SKIP_2) | instid1(VALU_DEP_2)
	v_mad_co_u64_u32 v[24:25], null, s16, v30, 0
	v_mov_b32_e32 v27, v38
	v_mad_co_u64_u32 v[39:40], null, s17, v13, v[2:3]
	v_lshlrev_b64_e32 v[0:1], 3, v[26:27]
	v_mad_co_u64_u32 v[26:27], null, s16, v32, 0
	s_delay_alu instid0(VALU_DEP_3) | instskip(SKIP_1) | instid1(VALU_DEP_4)
	v_dual_mov_b32 v2, v25 :: v_dual_mov_b32 v37, v39
	v_lshrrev_b32_e32 v25, 3, v34
	v_add_co_u32 v0, vcc_lo, v65, v0
	s_delay_alu instid0(VALU_DEP_3)
	v_mad_co_u64_u32 v[30:31], null, s17, v30, v[2:3]
	v_mov_b32_e32 v13, v27
	v_lshlrev_b64_e32 v[28:29], 3, v[36:37]
	v_mul_hi_u32 v2, 0xea0ea0f, v25
	s_wait_alu 0xfffd
	v_add_co_ci_u32_e32 v1, vcc_lo, v67, v1, vcc_lo
	v_mad_co_u64_u32 v[31:32], null, s17, v32, v[13:14]
	v_mad_co_u64_u32 v[32:33], null, s16, v35, 0
	v_add_co_u32 v28, vcc_lo, v65, v28
	v_mov_b32_e32 v25, v30
	s_wait_alu 0xfffd
	v_add_co_ci_u32_e32 v29, vcc_lo, v67, v29, vcc_lo
	v_lshrrev_b32_e32 v13, 1, v2
	global_store_b64 v[0:1], v[11:12], off
	v_lshlrev_b64_e32 v[1:2], 3, v[24:25]
	v_mov_b32_e32 v0, v33
	global_store_b64 v[28:29], v[22:23], off
	v_mul_u32_u24_e32 v28, 0x118, v13
	v_mov_b32_e32 v27, v31
	v_mad_co_u64_u32 v[22:23], null, s17, v35, v[0:1]
	s_delay_alu instid0(VALU_DEP_3) | instskip(NEXT) | instid1(VALU_DEP_3)
	v_sub_nc_u32_e32 v23, v34, v28
	v_lshlrev_b64_e32 v[11:12], 3, v[26:27]
	v_add_co_u32 v0, vcc_lo, v65, v1
	s_wait_alu 0xfffd
	v_add_co_ci_u32_e32 v1, vcc_lo, v67, v2, vcc_lo
	v_mad_u32_u24 v26, 0x578, v13, v23
	v_mov_b32_e32 v33, v22
	v_add_co_u32 v11, vcc_lo, v65, v11
	global_store_b64 v[0:1], v[18:19], off
	v_add_nc_u32_e32 v27, 0x230, v26
	v_mad_co_u64_u32 v[22:23], null, s16, v26, 0
	s_wait_alu 0xfffd
	v_add_co_ci_u32_e32 v12, vcc_lo, v67, v12, vcc_lo
	s_delay_alu instid0(VALU_DEP_3)
	v_mad_co_u64_u32 v[18:19], null, s16, v27, 0
	v_add_nc_u32_e32 v29, 0x460, v26
	global_store_b64 v[11:12], v[20:21], off
	v_dual_mov_b32 v2, v23 :: v_dual_add_nc_u32 v13, 0x118, v26
	v_add_nc_u32_e32 v28, 0x348, v26
	v_lshlrev_b64_e32 v[0:1], 3, v[32:33]
	s_delay_alu instid0(VALU_DEP_3) | instskip(SKIP_2) | instid1(VALU_DEP_4)
	v_mad_co_u64_u32 v[20:21], null, s17, v26, v[2:3]
	v_mov_b32_e32 v2, v19
	v_mad_co_u64_u32 v[11:12], null, s16, v13, 0
	v_add_co_u32 v0, vcc_lo, v65, v0
	s_delay_alu instid0(VALU_DEP_3)
	v_mad_co_u64_u32 v[26:27], null, s17, v27, v[2:3]
	s_wait_alu 0xfffd
	v_add_co_ci_u32_e32 v1, vcc_lo, v67, v1, vcc_lo
	v_mov_b32_e32 v23, v20
	v_mad_co_u64_u32 v[20:21], null, s16, v29, 0
	global_store_b64 v[0:1], v[14:15], off
	v_mov_b32_e32 v19, v26
	v_mad_co_u64_u32 v[24:25], null, s16, v28, 0
	v_lshlrev_b64_e32 v[1:2], 3, v[22:23]
	v_mad_co_u64_u32 v[12:13], null, s17, v13, v[12:13]
	s_delay_alu instid0(VALU_DEP_4) | instskip(NEXT) | instid1(VALU_DEP_4)
	v_lshlrev_b64_e32 v[18:19], 3, v[18:19]
	v_mov_b32_e32 v0, v25
	s_delay_alu instid0(VALU_DEP_3) | instskip(NEXT) | instid1(VALU_DEP_2)
	v_lshlrev_b64_e32 v[11:12], 3, v[11:12]
	v_mad_co_u64_u32 v[13:14], null, s17, v28, v[0:1]
	v_mov_b32_e32 v0, v21
	v_add_co_u32 v1, vcc_lo, v65, v1
	s_wait_alu 0xfffd
	v_add_co_ci_u32_e32 v2, vcc_lo, v67, v2, vcc_lo
	v_add_co_u32 v11, vcc_lo, v65, v11
	s_delay_alu instid0(VALU_DEP_3) | instskip(SKIP_4) | instid1(VALU_DEP_3)
	v_mad_co_u64_u32 v[14:15], null, s17, v29, v[0:1]
	v_mov_b32_e32 v25, v13
	s_wait_alu 0xfffd
	v_add_co_ci_u32_e32 v12, vcc_lo, v67, v12, vcc_lo
	v_add_co_u32 v13, vcc_lo, v65, v18
	v_lshlrev_b64_e32 v[22:23], 3, v[24:25]
	v_mov_b32_e32 v21, v14
	s_wait_alu 0xfffd
	v_add_co_ci_u32_e32 v14, vcc_lo, v67, v19, vcc_lo
	s_delay_alu instid0(VALU_DEP_2) | instskip(NEXT) | instid1(VALU_DEP_4)
	v_lshlrev_b64_e32 v[18:19], 3, v[20:21]
	v_add_co_u32 v20, vcc_lo, v65, v22
	s_wait_alu 0xfffd
	v_add_co_ci_u32_e32 v21, vcc_lo, v67, v23, vcc_lo
	s_delay_alu instid0(VALU_DEP_3)
	v_add_co_u32 v18, vcc_lo, v65, v18
	s_wait_alu 0xfffd
	v_add_co_ci_u32_e32 v19, vcc_lo, v67, v19, vcc_lo
	s_clause 0x4
	global_store_b64 v[1:2], v[16:17], off
	global_store_b64 v[11:12], v[3:4], off
	;; [unrolled: 1-line block ×5, first 2 shown]
.LBB0_45:
	s_nop 0
	s_sendmsg sendmsg(MSG_DEALLOC_VGPRS)
	s_endpgm
	.section	.rodata,"a",@progbits
	.p2align	6, 0x0
	.amdhsa_kernel fft_rtc_fwd_len1400_factors_2_2_2_5_7_5_wgs_56_tpt_56_halfLds_sp_op_CI_CI_sbrr_dirReg
		.amdhsa_group_segment_fixed_size 0
		.amdhsa_private_segment_fixed_size 0
		.amdhsa_kernarg_size 104
		.amdhsa_user_sgpr_count 2
		.amdhsa_user_sgpr_dispatch_ptr 0
		.amdhsa_user_sgpr_queue_ptr 0
		.amdhsa_user_sgpr_kernarg_segment_ptr 1
		.amdhsa_user_sgpr_dispatch_id 0
		.amdhsa_user_sgpr_private_segment_size 0
		.amdhsa_wavefront_size32 1
		.amdhsa_uses_dynamic_stack 0
		.amdhsa_enable_private_segment 0
		.amdhsa_system_sgpr_workgroup_id_x 1
		.amdhsa_system_sgpr_workgroup_id_y 0
		.amdhsa_system_sgpr_workgroup_id_z 0
		.amdhsa_system_sgpr_workgroup_info 0
		.amdhsa_system_vgpr_workitem_id 0
		.amdhsa_next_free_vgpr 136
		.amdhsa_next_free_sgpr 43
		.amdhsa_reserve_vcc 1
		.amdhsa_float_round_mode_32 0
		.amdhsa_float_round_mode_16_64 0
		.amdhsa_float_denorm_mode_32 3
		.amdhsa_float_denorm_mode_16_64 3
		.amdhsa_fp16_overflow 0
		.amdhsa_workgroup_processor_mode 1
		.amdhsa_memory_ordered 1
		.amdhsa_forward_progress 0
		.amdhsa_round_robin_scheduling 0
		.amdhsa_exception_fp_ieee_invalid_op 0
		.amdhsa_exception_fp_denorm_src 0
		.amdhsa_exception_fp_ieee_div_zero 0
		.amdhsa_exception_fp_ieee_overflow 0
		.amdhsa_exception_fp_ieee_underflow 0
		.amdhsa_exception_fp_ieee_inexact 0
		.amdhsa_exception_int_div_zero 0
	.end_amdhsa_kernel
	.text
.Lfunc_end0:
	.size	fft_rtc_fwd_len1400_factors_2_2_2_5_7_5_wgs_56_tpt_56_halfLds_sp_op_CI_CI_sbrr_dirReg, .Lfunc_end0-fft_rtc_fwd_len1400_factors_2_2_2_5_7_5_wgs_56_tpt_56_halfLds_sp_op_CI_CI_sbrr_dirReg
                                        ; -- End function
	.section	.AMDGPU.csdata,"",@progbits
; Kernel info:
; codeLenInByte = 19384
; NumSgprs: 45
; NumVgprs: 136
; ScratchSize: 0
; MemoryBound: 0
; FloatMode: 240
; IeeeMode: 1
; LDSByteSize: 0 bytes/workgroup (compile time only)
; SGPRBlocks: 5
; VGPRBlocks: 16
; NumSGPRsForWavesPerEU: 45
; NumVGPRsForWavesPerEU: 136
; Occupancy: 10
; WaveLimiterHint : 1
; COMPUTE_PGM_RSRC2:SCRATCH_EN: 0
; COMPUTE_PGM_RSRC2:USER_SGPR: 2
; COMPUTE_PGM_RSRC2:TRAP_HANDLER: 0
; COMPUTE_PGM_RSRC2:TGID_X_EN: 1
; COMPUTE_PGM_RSRC2:TGID_Y_EN: 0
; COMPUTE_PGM_RSRC2:TGID_Z_EN: 0
; COMPUTE_PGM_RSRC2:TIDIG_COMP_CNT: 0
	.text
	.p2alignl 7, 3214868480
	.fill 96, 4, 3214868480
	.type	__hip_cuid_956bc35d63269d2d,@object ; @__hip_cuid_956bc35d63269d2d
	.section	.bss,"aw",@nobits
	.globl	__hip_cuid_956bc35d63269d2d
__hip_cuid_956bc35d63269d2d:
	.byte	0                               ; 0x0
	.size	__hip_cuid_956bc35d63269d2d, 1

	.ident	"AMD clang version 19.0.0git (https://github.com/RadeonOpenCompute/llvm-project roc-6.4.0 25133 c7fe45cf4b819c5991fe208aaa96edf142730f1d)"
	.section	".note.GNU-stack","",@progbits
	.addrsig
	.addrsig_sym __hip_cuid_956bc35d63269d2d
	.amdgpu_metadata
---
amdhsa.kernels:
  - .args:
      - .actual_access:  read_only
        .address_space:  global
        .offset:         0
        .size:           8
        .value_kind:     global_buffer
      - .offset:         8
        .size:           8
        .value_kind:     by_value
      - .actual_access:  read_only
        .address_space:  global
        .offset:         16
        .size:           8
        .value_kind:     global_buffer
      - .actual_access:  read_only
        .address_space:  global
        .offset:         24
        .size:           8
        .value_kind:     global_buffer
      - .actual_access:  read_only
        .address_space:  global
        .offset:         32
        .size:           8
        .value_kind:     global_buffer
      - .offset:         40
        .size:           8
        .value_kind:     by_value
      - .actual_access:  read_only
        .address_space:  global
        .offset:         48
        .size:           8
        .value_kind:     global_buffer
      - .actual_access:  read_only
        .address_space:  global
        .offset:         56
        .size:           8
        .value_kind:     global_buffer
      - .offset:         64
        .size:           4
        .value_kind:     by_value
      - .actual_access:  read_only
        .address_space:  global
        .offset:         72
        .size:           8
        .value_kind:     global_buffer
      - .actual_access:  read_only
        .address_space:  global
        .offset:         80
        .size:           8
        .value_kind:     global_buffer
      - .actual_access:  read_only
        .address_space:  global
        .offset:         88
        .size:           8
        .value_kind:     global_buffer
      - .actual_access:  write_only
        .address_space:  global
        .offset:         96
        .size:           8
        .value_kind:     global_buffer
    .group_segment_fixed_size: 0
    .kernarg_segment_align: 8
    .kernarg_segment_size: 104
    .language:       OpenCL C
    .language_version:
      - 2
      - 0
    .max_flat_workgroup_size: 56
    .name:           fft_rtc_fwd_len1400_factors_2_2_2_5_7_5_wgs_56_tpt_56_halfLds_sp_op_CI_CI_sbrr_dirReg
    .private_segment_fixed_size: 0
    .sgpr_count:     45
    .sgpr_spill_count: 0
    .symbol:         fft_rtc_fwd_len1400_factors_2_2_2_5_7_5_wgs_56_tpt_56_halfLds_sp_op_CI_CI_sbrr_dirReg.kd
    .uniform_work_group_size: 1
    .uses_dynamic_stack: false
    .vgpr_count:     136
    .vgpr_spill_count: 0
    .wavefront_size: 32
    .workgroup_processor_mode: 1
amdhsa.target:   amdgcn-amd-amdhsa--gfx1201
amdhsa.version:
  - 1
  - 2
...

	.end_amdgpu_metadata
